;; amdgpu-corpus repo=ROCm/rocFFT kind=compiled arch=gfx1030 opt=O3
	.text
	.amdgcn_target "amdgcn-amd-amdhsa--gfx1030"
	.amdhsa_code_object_version 6
	.protected	fft_rtc_fwd_len1260_factors_2_2_3_3_5_7_wgs_63_tpt_63_halfLds_sp_ip_CI_sbrr_dirReg ; -- Begin function fft_rtc_fwd_len1260_factors_2_2_3_3_5_7_wgs_63_tpt_63_halfLds_sp_ip_CI_sbrr_dirReg
	.globl	fft_rtc_fwd_len1260_factors_2_2_3_3_5_7_wgs_63_tpt_63_halfLds_sp_ip_CI_sbrr_dirReg
	.p2align	8
	.type	fft_rtc_fwd_len1260_factors_2_2_3_3_5_7_wgs_63_tpt_63_halfLds_sp_ip_CI_sbrr_dirReg,@function
fft_rtc_fwd_len1260_factors_2_2_3_3_5_7_wgs_63_tpt_63_halfLds_sp_ip_CI_sbrr_dirReg: ; @fft_rtc_fwd_len1260_factors_2_2_3_3_5_7_wgs_63_tpt_63_halfLds_sp_ip_CI_sbrr_dirReg
; %bb.0:
	s_clause 0x2
	s_load_dwordx2 s[14:15], s[4:5], 0x18
	s_load_dwordx4 s[8:11], s[4:5], 0x0
	s_load_dwordx2 s[12:13], s[4:5], 0x50
	v_mul_u32_u24_e32 v1, 0x411, v0
	v_mov_b32_e32 v3, 0
	v_add_nc_u32_sdwa v5, s6, v1 dst_sel:DWORD dst_unused:UNUSED_PAD src0_sel:DWORD src1_sel:WORD_1
	v_mov_b32_e32 v1, 0
	v_mov_b32_e32 v6, v3
	v_mov_b32_e32 v2, 0
	s_waitcnt lgkmcnt(0)
	s_load_dwordx2 s[2:3], s[14:15], 0x0
	v_cmp_lt_u64_e64 s0, s[10:11], 2
	s_and_b32 vcc_lo, exec_lo, s0
	s_cbranch_vccnz .LBB0_8
; %bb.1:
	s_load_dwordx2 s[0:1], s[4:5], 0x10
	v_mov_b32_e32 v1, 0
	s_add_u32 s6, s14, 8
	v_mov_b32_e32 v2, 0
	s_addc_u32 s7, s15, 0
	s_mov_b64 s[18:19], 1
	s_waitcnt lgkmcnt(0)
	s_add_u32 s16, s0, 8
	s_addc_u32 s17, s1, 0
.LBB0_2:                                ; =>This Inner Loop Header: Depth=1
	s_load_dwordx2 s[20:21], s[16:17], 0x0
                                        ; implicit-def: $vgpr7_vgpr8
	s_mov_b32 s0, exec_lo
	s_waitcnt lgkmcnt(0)
	v_or_b32_e32 v4, s21, v6
	v_cmpx_ne_u64_e32 0, v[3:4]
	s_xor_b32 s1, exec_lo, s0
	s_cbranch_execz .LBB0_4
; %bb.3:                                ;   in Loop: Header=BB0_2 Depth=1
	v_cvt_f32_u32_e32 v4, s20
	v_cvt_f32_u32_e32 v7, s21
	s_sub_u32 s0, 0, s20
	s_subb_u32 s22, 0, s21
	v_fmac_f32_e32 v4, 0x4f800000, v7
	v_rcp_f32_e32 v4, v4
	v_mul_f32_e32 v4, 0x5f7ffffc, v4
	v_mul_f32_e32 v7, 0x2f800000, v4
	v_trunc_f32_e32 v7, v7
	v_fmac_f32_e32 v4, 0xcf800000, v7
	v_cvt_u32_f32_e32 v7, v7
	v_cvt_u32_f32_e32 v4, v4
	v_mul_lo_u32 v8, s0, v7
	v_mul_hi_u32 v9, s0, v4
	v_mul_lo_u32 v10, s22, v4
	v_add_nc_u32_e32 v8, v9, v8
	v_mul_lo_u32 v9, s0, v4
	v_add_nc_u32_e32 v8, v8, v10
	v_mul_hi_u32 v10, v4, v9
	v_mul_lo_u32 v11, v4, v8
	v_mul_hi_u32 v12, v4, v8
	v_mul_hi_u32 v13, v7, v9
	v_mul_lo_u32 v9, v7, v9
	v_mul_hi_u32 v14, v7, v8
	v_mul_lo_u32 v8, v7, v8
	v_add_co_u32 v10, vcc_lo, v10, v11
	v_add_co_ci_u32_e32 v11, vcc_lo, 0, v12, vcc_lo
	v_add_co_u32 v9, vcc_lo, v10, v9
	v_add_co_ci_u32_e32 v9, vcc_lo, v11, v13, vcc_lo
	v_add_co_ci_u32_e32 v10, vcc_lo, 0, v14, vcc_lo
	v_add_co_u32 v8, vcc_lo, v9, v8
	v_add_co_ci_u32_e32 v9, vcc_lo, 0, v10, vcc_lo
	v_add_co_u32 v4, vcc_lo, v4, v8
	v_add_co_ci_u32_e32 v7, vcc_lo, v7, v9, vcc_lo
	v_mul_hi_u32 v8, s0, v4
	v_mul_lo_u32 v10, s22, v4
	v_mul_lo_u32 v9, s0, v7
	v_add_nc_u32_e32 v8, v8, v9
	v_mul_lo_u32 v9, s0, v4
	v_add_nc_u32_e32 v8, v8, v10
	v_mul_hi_u32 v10, v4, v9
	v_mul_lo_u32 v11, v4, v8
	v_mul_hi_u32 v12, v4, v8
	v_mul_hi_u32 v13, v7, v9
	v_mul_lo_u32 v9, v7, v9
	v_mul_hi_u32 v14, v7, v8
	v_mul_lo_u32 v8, v7, v8
	v_add_co_u32 v10, vcc_lo, v10, v11
	v_add_co_ci_u32_e32 v11, vcc_lo, 0, v12, vcc_lo
	v_add_co_u32 v9, vcc_lo, v10, v9
	v_add_co_ci_u32_e32 v9, vcc_lo, v11, v13, vcc_lo
	v_add_co_ci_u32_e32 v10, vcc_lo, 0, v14, vcc_lo
	v_add_co_u32 v8, vcc_lo, v9, v8
	v_add_co_ci_u32_e32 v9, vcc_lo, 0, v10, vcc_lo
	v_add_co_u32 v4, vcc_lo, v4, v8
	v_add_co_ci_u32_e32 v11, vcc_lo, v7, v9, vcc_lo
	v_mul_hi_u32 v13, v5, v4
	v_mad_u64_u32 v[9:10], null, v6, v4, 0
	v_mad_u64_u32 v[7:8], null, v5, v11, 0
	;; [unrolled: 1-line block ×3, first 2 shown]
	v_add_co_u32 v4, vcc_lo, v13, v7
	v_add_co_ci_u32_e32 v7, vcc_lo, 0, v8, vcc_lo
	v_add_co_u32 v4, vcc_lo, v4, v9
	v_add_co_ci_u32_e32 v4, vcc_lo, v7, v10, vcc_lo
	v_add_co_ci_u32_e32 v7, vcc_lo, 0, v12, vcc_lo
	v_add_co_u32 v4, vcc_lo, v4, v11
	v_add_co_ci_u32_e32 v9, vcc_lo, 0, v7, vcc_lo
	v_mul_lo_u32 v10, s21, v4
	v_mad_u64_u32 v[7:8], null, s20, v4, 0
	v_mul_lo_u32 v11, s20, v9
	v_sub_co_u32 v7, vcc_lo, v5, v7
	v_add3_u32 v8, v8, v11, v10
	v_sub_nc_u32_e32 v10, v6, v8
	v_subrev_co_ci_u32_e64 v10, s0, s21, v10, vcc_lo
	v_add_co_u32 v11, s0, v4, 2
	v_add_co_ci_u32_e64 v12, s0, 0, v9, s0
	v_sub_co_u32 v13, s0, v7, s20
	v_sub_co_ci_u32_e32 v8, vcc_lo, v6, v8, vcc_lo
	v_subrev_co_ci_u32_e64 v10, s0, 0, v10, s0
	v_cmp_le_u32_e32 vcc_lo, s20, v13
	v_cmp_eq_u32_e64 s0, s21, v8
	v_cndmask_b32_e64 v13, 0, -1, vcc_lo
	v_cmp_le_u32_e32 vcc_lo, s21, v10
	v_cndmask_b32_e64 v14, 0, -1, vcc_lo
	v_cmp_le_u32_e32 vcc_lo, s20, v7
	;; [unrolled: 2-line block ×3, first 2 shown]
	v_cndmask_b32_e64 v15, 0, -1, vcc_lo
	v_cmp_eq_u32_e32 vcc_lo, s21, v10
	v_cndmask_b32_e64 v7, v15, v7, s0
	v_cndmask_b32_e32 v10, v14, v13, vcc_lo
	v_add_co_u32 v13, vcc_lo, v4, 1
	v_add_co_ci_u32_e32 v14, vcc_lo, 0, v9, vcc_lo
	v_cmp_ne_u32_e32 vcc_lo, 0, v10
	v_cndmask_b32_e32 v8, v14, v12, vcc_lo
	v_cndmask_b32_e32 v10, v13, v11, vcc_lo
	v_cmp_ne_u32_e32 vcc_lo, 0, v7
	v_cndmask_b32_e32 v8, v9, v8, vcc_lo
	v_cndmask_b32_e32 v7, v4, v10, vcc_lo
.LBB0_4:                                ;   in Loop: Header=BB0_2 Depth=1
	s_andn2_saveexec_b32 s0, s1
	s_cbranch_execz .LBB0_6
; %bb.5:                                ;   in Loop: Header=BB0_2 Depth=1
	v_cvt_f32_u32_e32 v4, s20
	s_sub_i32 s1, 0, s20
	v_rcp_iflag_f32_e32 v4, v4
	v_mul_f32_e32 v4, 0x4f7ffffe, v4
	v_cvt_u32_f32_e32 v4, v4
	v_mul_lo_u32 v7, s1, v4
	v_mul_hi_u32 v7, v4, v7
	v_add_nc_u32_e32 v4, v4, v7
	v_mul_hi_u32 v4, v5, v4
	v_mul_lo_u32 v7, v4, s20
	v_add_nc_u32_e32 v8, 1, v4
	v_sub_nc_u32_e32 v7, v5, v7
	v_subrev_nc_u32_e32 v9, s20, v7
	v_cmp_le_u32_e32 vcc_lo, s20, v7
	v_cndmask_b32_e32 v7, v7, v9, vcc_lo
	v_cndmask_b32_e32 v4, v4, v8, vcc_lo
	v_cmp_le_u32_e32 vcc_lo, s20, v7
	v_add_nc_u32_e32 v8, 1, v4
	v_cndmask_b32_e32 v7, v4, v8, vcc_lo
	v_mov_b32_e32 v8, v3
.LBB0_6:                                ;   in Loop: Header=BB0_2 Depth=1
	s_or_b32 exec_lo, exec_lo, s0
	s_load_dwordx2 s[0:1], s[6:7], 0x0
	v_mul_lo_u32 v4, v8, s20
	v_mul_lo_u32 v11, v7, s21
	v_mad_u64_u32 v[9:10], null, v7, s20, 0
	s_add_u32 s18, s18, 1
	s_addc_u32 s19, s19, 0
	s_add_u32 s6, s6, 8
	s_addc_u32 s7, s7, 0
	;; [unrolled: 2-line block ×3, first 2 shown]
	v_add3_u32 v4, v10, v11, v4
	v_sub_co_u32 v5, vcc_lo, v5, v9
	v_sub_co_ci_u32_e32 v4, vcc_lo, v6, v4, vcc_lo
	s_waitcnt lgkmcnt(0)
	v_mul_lo_u32 v6, s1, v5
	v_mul_lo_u32 v4, s0, v4
	v_mad_u64_u32 v[1:2], null, s0, v5, v[1:2]
	v_cmp_ge_u64_e64 s0, s[18:19], s[10:11]
	s_and_b32 vcc_lo, exec_lo, s0
	v_add3_u32 v2, v6, v2, v4
	s_cbranch_vccnz .LBB0_9
; %bb.7:                                ;   in Loop: Header=BB0_2 Depth=1
	v_mov_b32_e32 v5, v7
	v_mov_b32_e32 v6, v8
	s_branch .LBB0_2
.LBB0_8:
	v_mov_b32_e32 v8, v6
	v_mov_b32_e32 v7, v5
.LBB0_9:
	s_lshl_b64 s[0:1], s[10:11], 3
	v_mul_hi_u32 v3, 0x4104105, v0
	s_add_u32 s0, s14, s0
	s_addc_u32 s1, s15, s1
	s_load_dwordx2 s[4:5], s[4:5], 0x20
	s_load_dwordx2 s[0:1], s[0:1], 0x0
                                        ; implicit-def: $vgpr50
                                        ; implicit-def: $vgpr48
	v_mul_u32_u24_e32 v3, 63, v3
	v_sub_nc_u32_e32 v47, v0, v3
	v_add_nc_u32_e32 v49, 63, v47
	v_add_nc_u32_e32 v52, 0xbd, v47
	;; [unrolled: 1-line block ×5, first 2 shown]
	s_waitcnt lgkmcnt(0)
	v_cmp_gt_u64_e32 vcc_lo, s[4:5], v[7:8]
	v_mul_lo_u32 v3, s0, v8
	v_mul_lo_u32 v4, s1, v7
	v_mad_u64_u32 v[0:1], null, s0, v7, v[1:2]
	v_cmp_le_u64_e64 s0, s[4:5], v[7:8]
	v_add_nc_u32_e32 v60, 0x1b9, v47
	v_add_nc_u32_e32 v59, 0x1f8, v47
	;; [unrolled: 1-line block ×3, first 2 shown]
                                        ; implicit-def: $sgpr4_sgpr5
	v_add3_u32 v1, v4, v1, v3
	s_and_saveexec_b32 s1, s0
	s_xor_b32 s0, exec_lo, s1
; %bb.10:
	v_add_nc_u32_e32 v50, 63, v47
	v_add_nc_u32_e32 v48, 0x7e, v47
	;; [unrolled: 1-line block ×9, first 2 shown]
	s_mov_b64 s[4:5], 0
; %bb.11:
	s_or_saveexec_b32 s1, s0
	v_mov_b32_e32 v7, s5
	v_lshlrev_b64 v[0:1], 3, v[0:1]
	v_mov_b32_e32 v2, s4
	v_mov_b32_e32 v24, s5
	;; [unrolled: 1-line block ×19, first 2 shown]
                                        ; implicit-def: $vgpr9
                                        ; implicit-def: $vgpr32
                                        ; implicit-def: $vgpr34
                                        ; implicit-def: $vgpr36
                                        ; implicit-def: $vgpr44
                                        ; implicit-def: $vgpr30
                                        ; implicit-def: $vgpr28
                                        ; implicit-def: $vgpr46
                                        ; implicit-def: $vgpr42
                                        ; implicit-def: $vgpr5
	s_xor_b32 exec_lo, exec_lo, s1
	s_cbranch_execz .LBB0_13
; %bb.12:
	v_add_nc_u32_e32 v12, 0x276, v47
	v_mad_u64_u32 v[2:3], null, s2, v47, 0
	v_mad_u64_u32 v[6:7], null, s2, v49, 0
	;; [unrolled: 1-line block ×3, first 2 shown]
	v_add_nc_u32_e32 v13, 0x2b5, v47
	v_add_nc_u32_e32 v48, 0x7e, v47
	v_add_co_u32 v67, s0, s12, v0
	v_add_nc_u32_e32 v20, 0x2f4, v47
	v_mad_u64_u32 v[8:9], null, s2, v13, 0
	v_mad_u64_u32 v[10:11], null, s3, v47, v[3:4]
	;; [unrolled: 1-line block ×3, first 2 shown]
	v_add_co_ci_u32_e64 v68, s0, s13, v1, s0
	v_mad_u64_u32 v[14:15], null, s2, v20, 0
	v_mov_b32_e32 v3, v10
	v_add_nc_u32_e32 v25, 0x372, v47
	v_mov_b32_e32 v5, v11
	v_mad_u64_u32 v[10:11], null, s3, v49, v[7:8]
	v_lshlrev_b64 v[2:3], 3, v[2:3]
	v_add_nc_u32_e32 v31, 0x3b1, v47
	v_lshlrev_b64 v[4:5], 3, v[4:5]
	v_mad_u64_u32 v[35:36], null, s2, v60, 0
	v_mad_u64_u32 v[45:46], null, s2, v59, 0
	;; [unrolled: 1-line block ×4, first 2 shown]
	v_mov_b32_e32 v7, v10
	v_add_co_u32 v2, s0, v67, v2
	v_add_co_ci_u32_e64 v3, s0, v68, v3, s0
	v_mov_b32_e32 v9, v11
	v_mov_b32_e32 v10, v13
	v_lshlrev_b64 v[6:7], 3, v[6:7]
	v_add_co_u32 v4, s0, v67, v4
	v_lshlrev_b64 v[8:9], 3, v[8:9]
	v_mad_u64_u32 v[10:11], null, s3, v48, v[10:11]
	v_add_co_ci_u32_e64 v5, s0, v68, v5, s0
	v_add_co_u32 v16, s0, v67, v6
	v_add_co_ci_u32_e64 v17, s0, v68, v7, s0
	v_mov_b32_e32 v13, v10
	v_mad_u64_u32 v[10:11], null, s2, v52, 0
	v_mov_b32_e32 v6, v15
	v_add_co_u32 v18, s0, v67, v8
	v_lshlrev_b64 v[12:13], 3, v[12:13]
	v_add_co_ci_u32_e64 v19, s0, v68, v9, s0
	v_mad_u64_u32 v[20:21], null, s3, v20, v[6:7]
	s_clause 0x3
	global_load_dwordx2 v[6:7], v[2:3], off
	global_load_dwordx2 v[8:9], v[4:5], off
	;; [unrolled: 1-line block ×4, first 2 shown]
	v_mad_u64_u32 v[18:19], null, s3, v52, v[11:12]
	v_add_nc_u32_e32 v21, 0x333, v47
	v_add_co_u32 v12, s0, v67, v12
	v_mov_b32_e32 v15, v20
	v_add_co_ci_u32_e64 v13, s0, v68, v13, s0
	v_mad_u64_u32 v[16:17], null, s2, v21, 0
	v_mov_b32_e32 v11, v18
	v_mad_u64_u32 v[18:19], null, s2, v55, 0
	v_lshlrev_b64 v[14:15], 3, v[14:15]
	v_mad_u64_u32 v[61:62], null, s2, v58, 0
	v_lshlrev_b64 v[10:11], 3, v[10:11]
	v_mad_u64_u32 v[20:21], null, s3, v21, v[17:18]
	v_mov_b32_e32 v17, v19
	v_mad_u64_u32 v[21:22], null, s2, v25, 0
	v_add_co_u32 v14, s0, v67, v14
	v_mad_u64_u32 v[23:24], null, s3, v55, v[17:18]
	v_mov_b32_e32 v17, v20
	v_add_co_ci_u32_e64 v15, s0, v68, v15, s0
	v_mov_b32_e32 v20, v22
	v_add_co_u32 v10, s0, v67, v10
	v_lshlrev_b64 v[16:17], 3, v[16:17]
	v_mov_b32_e32 v19, v23
	v_mad_u64_u32 v[23:24], null, s2, v54, 0
	v_add_co_ci_u32_e64 v11, s0, v68, v11, s0
	v_mad_u64_u32 v[25:26], null, s3, v25, v[20:21]
	v_add_co_u32 v26, s0, v67, v16
	v_add_co_ci_u32_e64 v27, s0, v68, v17, s0
	v_lshlrev_b64 v[17:18], 3, v[18:19]
	v_mov_b32_e32 v16, v24
	v_mad_u64_u32 v[19:20], null, s2, v31, 0
	v_mov_b32_e32 v22, v25
	v_add_nc_u32_e32 v25, 0x3f0, v47
	v_mad_u64_u32 v[28:29], null, s3, v54, v[16:17]
	v_add_co_u32 v29, s0, v67, v17
	v_add_co_ci_u32_e64 v30, s0, v68, v18, s0
	v_mov_b32_e32 v18, v20
	v_lshlrev_b64 v[16:17], 3, v[21:22]
	v_mad_u64_u32 v[21:22], null, s2, v53, 0
	v_mov_b32_e32 v24, v28
	v_mad_u64_u32 v[31:32], null, s3, v31, v[18:19]
	v_add_co_u32 v33, s0, v67, v16
	v_add_co_ci_u32_e64 v34, s0, v68, v17, s0
	v_lshlrev_b64 v[16:17], 3, v[23:24]
	v_mov_b32_e32 v18, v22
	v_mad_u64_u32 v[23:24], null, s2, v25, 0
	v_mov_b32_e32 v20, v31
	v_add_nc_u32_e32 v28, 0x42f, v47
	v_mad_u64_u32 v[31:32], null, s3, v53, v[18:19]
	v_add_co_u32 v37, s0, v67, v16
	v_add_co_ci_u32_e64 v38, s0, v68, v17, s0
	v_lshlrev_b64 v[17:18], 3, v[19:20]
	v_mov_b32_e32 v16, v24
	v_mov_b32_e32 v22, v31
	v_mad_u64_u32 v[31:32], null, s2, v28, 0
	v_mad_u64_u32 v[19:20], null, s3, v25, v[16:17]
	v_add_co_u32 v39, s0, v67, v17
	v_add_co_ci_u32_e64 v40, s0, v68, v18, s0
	v_lshlrev_b64 v[17:18], 3, v[21:22]
	v_mov_b32_e32 v16, v36
	v_mov_b32_e32 v24, v19
	v_mad_u64_u32 v[20:21], null, s3, v60, v[16:17]
	v_add_co_u32 v43, s0, v67, v17
	v_add_co_ci_u32_e64 v44, s0, v68, v18, s0
	v_lshlrev_b64 v[17:18], 3, v[23:24]
	v_mov_b32_e32 v16, v32
	v_mov_b32_e32 v36, v20
	v_add_nc_u32_e32 v23, 0x46e, v47
	v_mad_u64_u32 v[19:20], null, s3, v28, v[16:17]
	v_add_co_u32 v50, s0, v67, v17
	v_add_co_ci_u32_e64 v51, s0, v68, v18, s0
	v_mov_b32_e32 v18, v46
	v_lshlrev_b64 v[16:17], 3, v[35:36]
	v_mov_b32_e32 v32, v19
	v_mad_u64_u32 v[19:20], null, s2, v23, 0
	v_add_nc_u32_e32 v28, 0x4ad, v47
	v_add_co_u32 v56, s0, v67, v16
	v_add_co_ci_u32_e64 v57, s0, v68, v17, s0
	v_mad_u64_u32 v[21:22], null, s3, v59, v[18:19]
	v_lshlrev_b64 v[16:17], 3, v[31:32]
	v_mad_u64_u32 v[65:66], null, s2, v28, 0
	v_mov_b32_e32 v18, v20
	v_mov_b32_e32 v46, v21
	;; [unrolled: 1-line block ×3, first 2 shown]
	v_add_co_u32 v63, s0, v67, v16
	v_add_co_ci_u32_e64 v64, s0, v68, v17, s0
	v_mad_u64_u32 v[16:17], null, s3, v23, v[18:19]
	s_clause 0x3
	global_load_dwordx2 v[23:24], v[12:13], off
	global_load_dwordx2 v[41:42], v[14:15], off
	;; [unrolled: 1-line block ×4, first 2 shown]
	v_mad_u64_u32 v[10:11], null, s3, v58, v[21:22]
	v_lshlrev_b64 v[12:13], 3, v[45:46]
	v_mov_b32_e32 v11, v66
	s_clause 0x3
	global_load_dwordx2 v[21:22], v[29:30], off
	global_load_dwordx2 v[33:34], v[33:34], off
	;; [unrolled: 1-line block ×4, first 2 shown]
	v_mov_b32_e32 v20, v16
	v_mad_u64_u32 v[14:15], null, s3, v28, v[11:12]
	v_mov_b32_e32 v62, v10
	v_lshlrev_b64 v[15:16], 3, v[19:20]
	v_add_co_u32 v10, s0, v67, v12
	v_add_co_ci_u32_e64 v11, s0, v68, v13, s0
	v_mov_b32_e32 v66, v14
	v_lshlrev_b64 v[12:13], 3, v[61:62]
	v_add_co_u32 v14, s0, v67, v15
	v_add_co_ci_u32_e64 v15, s0, v68, v16, s0
	v_lshlrev_b64 v[19:20], 3, v[65:66]
	v_add_co_u32 v12, s0, v67, v12
	v_add_co_ci_u32_e64 v13, s0, v68, v13, s0
	v_add_co_u32 v29, s0, v67, v19
	v_add_co_ci_u32_e64 v30, s0, v68, v20, s0
	s_clause 0x7
	global_load_dwordx2 v[37:38], v[43:44], off
	global_load_dwordx2 v[45:46], v[50:51], off
	;; [unrolled: 1-line block ×8, first 2 shown]
	v_mov_b32_e32 v50, v49
.LBB0_13:
	s_or_b32 exec_lo, exec_lo, s1
	s_waitcnt vmcnt(18)
	v_sub_f32_e32 v10, v6, v8
	v_sub_f32_e32 v72, v7, v9
	s_waitcnt vmcnt(16)
	v_sub_f32_e32 v8, v2, v4
	s_waitcnt vmcnt(14)
	;; [unrolled: 2-line block ×3, first 2 shown]
	v_sub_f32_e32 v14, v17, v31
	v_fma_f32 v9, v6, 2.0, -v10
	v_fma_f32 v71, v7, 2.0, -v72
	;; [unrolled: 1-line block ×3, first 2 shown]
	v_lshl_add_u32 v2, v47, 3, 0
	v_lshl_add_u32 v61, v50, 3, 0
	v_fma_f32 v11, v23, 2.0, -v12
	v_lshl_add_u32 v62, v48, 3, 0
	s_waitcnt vmcnt(10)
	v_sub_f32_e32 v57, v21, v33
	v_fma_f32 v13, v17, 2.0, -v14
	v_lshl_add_u32 v63, v52, 3, 0
	ds_write_b64 v2, v[9:10]
	ds_write_b64 v61, v[7:8]
	s_waitcnt vmcnt(8)
	v_sub_f32_e32 v7, v25, v35
	s_waitcnt vmcnt(6)
	v_sub_f32_e32 v9, v37, v45
	ds_write_b64 v62, v[11:12]
	s_waitcnt vmcnt(4)
	v_sub_f32_e32 v11, v39, v43
	v_fma_f32 v56, v21, 2.0, -v57
	ds_write_b64 v63, v[13:14]
	v_lshl_add_u32 v64, v55, 3, 0
	s_waitcnt vmcnt(2)
	v_sub_f32_e32 v13, v19, v27
	s_waitcnt vmcnt(0)
	v_sub_f32_e32 v67, v15, v29
	v_lshlrev_b32_e32 v4, 2, v47
	v_fma_f32 v6, v25, 2.0, -v7
	v_lshl_add_u32 v65, v54, 3, 0
	v_fma_f32 v8, v37, 2.0, -v9
	v_lshl_add_u32 v70, v53, 3, 0
	v_fma_f32 v10, v39, 2.0, -v11
	v_lshl_add_u32 v17, v60, 3, 0
	ds_write_b64 v64, v[56:57]
	v_fma_f32 v12, v19, 2.0, -v13
	v_lshl_add_u32 v56, v59, 3, 0
	v_fma_f32 v66, v15, 2.0, -v67
	v_lshl_add_u32 v21, v58, 3, 0
	v_sub_nc_u32_e32 v51, v2, v4
	v_lshlrev_b32_e32 v57, 2, v59
	v_sub_f32_e32 v4, v3, v5
	ds_write_b64 v65, v[6:7]
	ds_write_b64 v70, v[8:9]
	;; [unrolled: 1-line block ×5, first 2 shown]
	v_lshlrev_b32_e32 v7, 2, v58
	v_lshlrev_b32_e32 v97, 2, v50
	v_sub_f32_e32 v25, v24, v42
	v_lshlrev_b32_e32 v98, 2, v48
	v_lshlrev_b32_e32 v99, 2, v52
	;; [unrolled: 1-line block ×6, first 2 shown]
	v_sub_nc_u32_e32 v88, v56, v57
	v_fma_f32 v3, v3, 2.0, -v4
	v_sub_nc_u32_e32 v73, v21, v7
	v_sub_nc_u32_e32 v74, v61, v97
	v_fma_f32 v24, v24, 2.0, -v25
	v_add_nc_u32_e32 v66, 0x800, v51
	v_sub_nc_u32_e32 v75, v62, v98
	v_sub_f32_e32 v19, v18, v32
	v_add_nc_u32_e32 v41, 0xa00, v51
	v_sub_nc_u32_e32 v100, v63, v99
	v_sub_f32_e32 v23, v22, v34
	v_sub_f32_e32 v32, v38, v46
	v_sub_nc_u32_e32 v104, v64, v102
	v_add_nc_u32_e32 v68, 0xc00, v51
	v_sub_f32_e32 v27, v26, v36
	v_sub_f32_e32 v34, v40, v44
	;; [unrolled: 1-line block ×3, first 2 shown]
	s_waitcnt lgkmcnt(0)
	s_barrier
	buffer_gl0_inv
	v_sub_nc_u32_e32 v39, v17, v6
	v_sub_nc_u32_e32 v105, v65, v103
	;; [unrolled: 1-line block ×3, first 2 shown]
	v_add_nc_u32_e32 v67, 0xe00, v51
	ds_read_b32 v106, v51
	ds_read_b32 v107, v74
	;; [unrolled: 1-line block ×8, first 2 shown]
	v_add_nc_u32_e32 v69, 0x1000, v51
	ds_read_b32 v114, v88
	ds_read_b32 v115, v73
	ds_read2_b32 v[14:15], v66 offset0:118 offset1:181
	ds_read2_b32 v[12:13], v41 offset0:116 offset1:179
	;; [unrolled: 1-line block ×5, first 2 shown]
	s_waitcnt lgkmcnt(0)
	s_barrier
	buffer_gl0_inv
	ds_write_b64 v2, v[71:72]
	ds_write_b64 v61, v[3:4]
	;; [unrolled: 1-line block ×3, first 2 shown]
	v_sub_f32_e32 v3, v20, v28
	v_fma_f32 v18, v18, 2.0, -v19
	v_fma_f32 v22, v22, 2.0, -v23
	;; [unrolled: 1-line block ×7, first 2 shown]
	ds_write_b64 v63, v[18:19]
	v_and_b32_e32 v18, 1, v47
	ds_write_b64 v64, v[22:23]
	ds_write_b64 v65, v[26:27]
	;; [unrolled: 1-line block ×5, first 2 shown]
	v_and_b32_e32 v3, 1, v50
	ds_write_b64 v21, v[4:5]
	v_and_b32_e32 v4, 1, v52
	v_and_b32_e32 v5, 1, v54
	v_lshlrev_b32_e32 v2, 3, v18
	v_and_b32_e32 v19, 1, v60
	v_lshlrev_b32_e32 v16, 3, v3
	;; [unrolled: 2-line block ×3, first 2 shown]
	v_lshlrev_b32_e32 v20, 3, v5
	s_waitcnt lgkmcnt(0)
	s_barrier
	buffer_gl0_inv
	s_clause 0x1
	global_load_dwordx2 v[24:25], v2, s[8:9]
	global_load_dwordx2 v[32:33], v16, s[8:9]
	v_lshlrev_b32_e32 v2, 3, v19
	v_lshlrev_b32_e32 v16, 3, v21
	s_clause 0x3
	global_load_dwordx2 v[34:35], v17, s[8:9]
	global_load_dwordx2 v[30:31], v20, s[8:9]
	;; [unrolled: 1-line block ×4, first 2 shown]
	v_lshlrev_b32_e32 v20, 1, v52
	v_lshlrev_b32_e32 v36, 1, v53
	;; [unrolled: 1-line block ×3, first 2 shown]
	ds_read2_b32 v[44:45], v41 offset0:116 offset1:179
	v_lshlrev_b32_e32 v2, 1, v47
	v_and_or_b32 v4, 0x1fc, v20, v4
	v_and_or_b32 v20, 0x3fc, v36, v18
	;; [unrolled: 1-line block ×3, first 2 shown]
	ds_read2_b32 v[36:37], v66 offset0:118 offset1:181
	v_lshlrev_b32_e32 v16, 1, v50
	v_lshlrev_b32_e32 v17, 1, v48
	;; [unrolled: 1-line block ×6, first 2 shown]
	v_and_or_b32 v2, 0x7c, v2, v18
	v_and_or_b32 v3, 0xfc, v16, v3
	;; [unrolled: 1-line block ×6, first 2 shown]
	ds_read2_b32 v[40:41], v68 offset0:114 offset1:177
	ds_read_b32 v87, v39
	ds_read2_b32 v[42:43], v67 offset0:112 offset1:175
	ds_read2_b32 v[38:39], v69 offset0:110 offset1:173
	ds_read_b32 v88, v88
	ds_read_b32 v89, v73
	;; [unrolled: 1-line block ×9, first 2 shown]
	v_and_or_b32 v5, 0x2fc, v23, v5
	v_lshl_add_u32 v59, v2, 2, 0
	v_lshl_add_u32 v77, v3, 2, 0
	;; [unrolled: 1-line block ×10, first 2 shown]
	v_add_nc_u32_e32 v86, 0x400, v51
	s_waitcnt vmcnt(0) lgkmcnt(0)
	s_barrier
	buffer_gl0_inv
	v_cmp_gt_u32_e64 s0, 42, v47
	v_sub_nc_u32_e32 v99, 0, v99
	v_mul_f32_e32 v2, v36, v25
	v_mul_f32_e32 v3, v37, v33
	;; [unrolled: 1-line block ×10, first 2 shown]
	v_fma_f32 v2, v14, v24, -v2
	v_fma_f32 v3, v15, v32, -v3
	;; [unrolled: 1-line block ×10, first 2 shown]
	v_sub_f32_e32 v2, v106, v2
	v_sub_f32_e32 v3, v107, v3
	;; [unrolled: 1-line block ×10, first 2 shown]
	v_fma_f32 v21, v106, 2.0, -v2
	v_fma_f32 v22, v107, 2.0, -v3
	;; [unrolled: 1-line block ×10, first 2 shown]
	ds_write2_b32 v59, v21, v2 offset1:2
	ds_write2_b32 v77, v22, v3 offset1:2
	;; [unrolled: 1-line block ×10, first 2 shown]
	s_waitcnt lgkmcnt(0)
	s_barrier
	buffer_gl0_inv
	ds_read_b32 v73, v75
	ds_read_b32 v72, v100
	;; [unrolled: 1-line block ×6, first 2 shown]
	ds_read2_b32 v[22:23], v86 offset0:164 offset1:227
	ds_read2_b32 v[20:21], v68 offset0:72 offset1:135
	ds_read2_b32 v[18:19], v66 offset0:34 offset1:97
	ds_read2_b32 v[16:17], v67 offset0:70 offset1:133
	ds_read2_b32 v[4:5], v66 offset0:160 offset1:223
	ds_read2_b32 v[2:3], v69 offset0:68 offset1:131
	v_sub_nc_u32_e32 v58, 0, v101
	v_sub_nc_u32_e32 v101, 0, v97
	;; [unrolled: 1-line block ×5, first 2 shown]
	v_add_nc_u32_e32 v58, v70, v58
                                        ; implicit-def: $vgpr70
	s_and_saveexec_b32 s1, s0
	s_cbranch_execz .LBB0_15
; %bb.14:
	ds_read_b32 v76, v51 offset:3192
	ds_read_b32 v46, v58
	ds_read_b32 v70, v51 offset:4872
.LBB0_15:
	s_or_b32 exec_lo, exec_lo, s1
	v_mul_f32_e32 v14, v14, v25
	v_mul_f32_e32 v15, v15, v33
	v_mul_f32_e32 v12, v12, v25
	v_mul_f32_e32 v13, v13, v35
	v_mul_f32_e32 v10, v10, v25
	v_mul_f32_e32 v8, v8, v25
	v_fmac_f32_e32 v14, v36, v24
	v_mul_f32_e32 v11, v11, v31
	v_mul_f32_e32 v9, v9, v29
	;; [unrolled: 1-line block ×4, first 2 shown]
	v_fmac_f32_e32 v15, v37, v32
	v_fmac_f32_e32 v12, v44, v24
	;; [unrolled: 1-line block ×9, first 2 shown]
	v_sub_f32_e32 v14, v92, v14
	v_sub_f32_e32 v15, v93, v15
	;; [unrolled: 1-line block ×6, first 2 shown]
	v_fma_f32 v24, v92, 2.0, -v14
	v_sub_f32_e32 v11, v91, v11
	v_sub_f32_e32 v9, v87, v9
	;; [unrolled: 1-line block ×4, first 2 shown]
	v_fma_f32 v25, v93, 2.0, -v15
	v_fma_f32 v26, v94, 2.0, -v12
	;; [unrolled: 1-line block ×9, first 2 shown]
	s_waitcnt lgkmcnt(0)
	s_barrier
	buffer_gl0_inv
	ds_write2_b32 v59, v24, v14 offset1:2
	ds_write2_b32 v77, v25, v15 offset1:2
	;; [unrolled: 1-line block ×10, first 2 shown]
	v_add_nc_u32_e32 v29, v61, v101
	v_add_nc_u32_e32 v28, v62, v100
	;; [unrolled: 1-line block ×4, first 2 shown]
	s_waitcnt lgkmcnt(0)
	s_barrier
	buffer_gl0_inv
	ds_read2_b32 v[24:25], v86 offset0:164 offset1:227
	ds_read2_b32 v[14:15], v68 offset0:72 offset1:135
	;; [unrolled: 1-line block ×6, first 2 shown]
	v_add_nc_u32_e32 v33, v65, v97
	ds_read_b32 v59, v51
	ds_read_b32 v45, v29
	;; [unrolled: 1-line block ×6, first 2 shown]
                                        ; implicit-def: $vgpr32
	s_and_saveexec_b32 s1, s0
	s_cbranch_execz .LBB0_17
; %bb.16:
	ds_read_b32 v31, v51 offset:3192
	ds_read_b32 v30, v58
	ds_read_b32 v32, v51 offset:4872
.LBB0_17:
	s_or_b32 exec_lo, exec_lo, s1
	v_and_b32_e32 v34, 3, v47
	v_and_b32_e32 v35, 3, v50
	v_and_b32_e32 v62, 3, v48
	v_and_b32_e32 v64, 3, v54
	v_lshrrev_b32_e32 v66, 2, v50
	v_lshlrev_b32_e32 v37, 4, v34
	v_lshlrev_b32_e32 v61, 4, v35
	;; [unrolled: 1-line block ×3, first 2 shown]
	v_lshrrev_b32_e32 v67, 2, v48
	v_lshrrev_b32_e32 v68, 2, v52
	s_clause 0x1
	global_load_dwordx4 v[39:42], v37, s[8:9] offset:16
	global_load_dwordx4 v[92:95], v61, s[8:9] offset:16
	v_and_b32_e32 v37, 3, v52
	global_load_dwordx4 v[96:99], v63, s[8:9] offset:16
	v_lshrrev_b32_e32 v69, 2, v55
	v_mul_lo_u32 v66, v66, 12
	v_mul_lo_u32 v67, v67, 12
	v_lshlrev_b32_e32 v61, 4, v37
	v_mul_lo_u32 v68, v68, 12
	v_mul_lo_u32 v69, v69, 12
	v_lshrrev_b32_e32 v77, 2, v54
	global_load_dwordx4 v[100:103], v61, s[8:9] offset:16
	v_and_b32_e32 v61, 3, v53
	v_lshlrev_b32_e32 v63, 4, v64
	v_or_b32_e32 v35, v66, v35
	v_or_b32_e32 v62, v67, v62
	;; [unrolled: 1-line block ×3, first 2 shown]
	v_lshlrev_b32_e32 v65, 4, v61
	s_clause 0x1
	global_load_dwordx4 v[104:107], v63, s[8:9] offset:16
	global_load_dwordx4 v[108:111], v65, s[8:9] offset:16
	v_lshrrev_b32_e32 v65, 2, v47
	v_mul_lo_u32 v77, v77, 12
	v_lshl_add_u32 v68, v35, 2, 0
	v_lshl_add_u32 v67, v62, 2, 0
	;; [unrolled: 1-line block ×3, first 2 shown]
	v_mul_u32_u24_e32 v65, 12, v65
	v_lshrrev_b32_e32 v63, 2, v53
	s_waitcnt vmcnt(0) lgkmcnt(0)
	s_barrier
	v_or_b32_e32 v64, v77, v64
	v_or_b32_e32 v65, v65, v34
	;; [unrolled: 1-line block ×3, first 2 shown]
	buffer_gl0_inv
	v_lshl_add_u32 v64, v64, 2, 0
	v_lshl_add_u32 v69, v65, 2, 0
	;; [unrolled: 1-line block ×3, first 2 shown]
	v_mul_f32_e32 v34, v24, v40
	v_mul_f32_e32 v89, v22, v40
	;; [unrolled: 1-line block ×20, first 2 shown]
	v_fma_f32 v90, v22, v39, -v34
	v_mul_f32_e32 v42, v9, v105
	v_mul_f32_e32 v78, v5, v105
	;; [unrolled: 1-line block ×8, first 2 shown]
	v_fma_f32 v91, v20, v41, -v35
	v_fmac_f32_e32 v88, v25, v92
	v_fma_f32 v25, v21, v94, -v93
	v_fmac_f32_e32 v85, v15, v94
	v_fma_f32 v21, v17, v102, -v101
	v_fma_f32 v15, v76, v108, -v107
	;; [unrolled: 1-line block ×4, first 2 shown]
	v_fmac_f32_e32 v89, v24, v39
	v_fma_f32 v22, v18, v96, -v95
	v_fma_f32 v24, v16, v98, -v97
	v_fmac_f32_e32 v86, v14, v41
	v_fma_f32 v19, v19, v100, -v99
	v_fma_f32 v18, v4, v39, -v103
	;; [unrolled: 1-line block ×3, first 2 shown]
	v_fmac_f32_e32 v80, v6, v41
	v_fma_f32 v14, v5, v104, -v42
	v_fma_f32 v16, v3, v106, -v105
	v_fmac_f32_e32 v79, v31, v108
	v_fmac_f32_e32 v77, v32, v110
	v_add_f32_e32 v3, v90, v91
	v_add_f32_e32 v41, v15, v17
	;; [unrolled: 1-line block ×3, first 2 shown]
	v_fmac_f32_e32 v87, v12, v96
	v_fmac_f32_e32 v84, v10, v98
	;; [unrolled: 1-line block ×3, first 2 shown]
	v_add_f32_e32 v9, v22, v24
	v_fmac_f32_e32 v83, v13, v100
	v_fmac_f32_e32 v81, v11, v102
	;; [unrolled: 1-line block ×4, first 2 shown]
	v_add_f32_e32 v2, v75, v90
	v_sub_f32_e32 v4, v89, v86
	v_add_f32_e32 v5, v74, v23
	v_add_f32_e32 v8, v73, v22
	;; [unrolled: 1-line block ×8, first 2 shown]
	v_sub_f32_e32 v70, v79, v77
	v_fmac_f32_e32 v75, -0.5, v3
	v_fmac_f32_e32 v46, -0.5, v41
	v_sub_f32_e32 v7, v88, v85
	v_fmac_f32_e32 v74, -0.5, v6
	v_sub_f32_e32 v10, v87, v84
	;; [unrolled: 2-line block ×3, first 2 shown]
	v_sub_f32_e32 v34, v82, v80
	v_add_f32_e32 v35, v60, v14
	v_sub_f32_e32 v39, v78, v62
	v_add_f32_e32 v2, v2, v91
	v_add_f32_e32 v3, v5, v25
	;; [unrolled: 1-line block ×4, first 2 shown]
	v_fmac_f32_e32 v72, -0.5, v12
	v_add_f32_e32 v8, v31, v20
	v_fmac_f32_e32 v71, -0.5, v32
	v_fmac_f32_e32 v60, -0.5, v37
	v_add_f32_e32 v31, v40, v17
	v_fmamk_f32 v11, v4, 0x3f5db3d7, v75
	v_fmamk_f32 v42, v70, 0x3f5db3d7, v46
	v_fmac_f32_e32 v46, 0xbf5db3d7, v70
	v_fmac_f32_e32 v75, 0xbf5db3d7, v4
	v_fmamk_f32 v4, v7, 0x3f5db3d7, v74
	v_fmac_f32_e32 v74, 0xbf5db3d7, v7
	v_fmamk_f32 v7, v10, 0x3f5db3d7, v73
	v_add_f32_e32 v9, v35, v16
	v_fmac_f32_e32 v73, 0xbf5db3d7, v10
	v_fmamk_f32 v10, v13, 0x3f5db3d7, v72
	v_fmac_f32_e32 v72, 0xbf5db3d7, v13
	v_fmamk_f32 v12, v34, 0x3f5db3d7, v71
	;; [unrolled: 2-line block ×3, first 2 shown]
	v_fmac_f32_e32 v60, 0xbf5db3d7, v39
	ds_write2_b32 v69, v2, v11 offset1:4
	ds_write_b32 v69, v75 offset:32
	ds_write2_b32 v68, v3, v4 offset1:4
	ds_write_b32 v68, v74 offset:32
	;; [unrolled: 2-line block ×6, first 2 shown]
	s_and_saveexec_b32 s1, s0
	s_cbranch_execz .LBB0_19
; %bb.18:
	v_mul_lo_u32 v2, v63, 12
	v_or_b32_e32 v2, v2, v61
	v_lshl_add_u32 v2, v2, 2, 0
	ds_write2_b32 v2, v31, v42 offset1:4
	ds_write_b32 v2, v46 offset:32
.LBB0_19:
	s_or_b32 exec_lo, exec_lo, s1
	v_add_nc_u32_e32 v2, 0x400, v51
	v_add_nc_u32_e32 v3, 0xc00, v51
	;; [unrolled: 1-line block ×4, first 2 shown]
	s_waitcnt lgkmcnt(0)
	s_barrier
	buffer_gl0_inv
	ds_read2_b32 v[10:11], v2 offset0:164 offset1:227
	v_add_nc_u32_e32 v2, 0x1000, v51
	ds_read2_b32 v[12:13], v3 offset0:72 offset1:135
	ds_read2_b32 v[8:9], v4 offset0:34 offset1:97
	;; [unrolled: 1-line block ×5, first 2 shown]
	ds_read_b32 v41, v51
	ds_read_b32 v40, v29
	;; [unrolled: 1-line block ×6, first 2 shown]
	s_and_saveexec_b32 s1, s0
	s_cbranch_execz .LBB0_21
; %bb.20:
	ds_read_b32 v42, v51 offset:3192
	ds_read_b32 v31, v58
	ds_read_b32 v46, v51 offset:4872
.LBB0_21:
	s_or_b32 exec_lo, exec_lo, s1
	v_add_f32_e32 v32, v89, v86
	v_add_f32_e32 v60, v59, v89
	;; [unrolled: 1-line block ×4, first 2 shown]
	v_sub_f32_e32 v70, v90, v91
	v_fmac_f32_e32 v59, -0.5, v32
	v_add_f32_e32 v32, v45, v88
	v_fmac_f32_e32 v45, -0.5, v71
	v_sub_f32_e32 v23, v23, v25
	v_sub_f32_e32 v22, v22, v24
	v_fmamk_f32 v71, v70, 0xbf5db3d7, v59
	v_add_f32_e32 v25, v32, v85
	v_add_f32_e32 v32, v44, v87
	v_fmac_f32_e32 v44, -0.5, v72
	v_fmac_f32_e32 v59, 0x3f5db3d7, v70
	v_fmamk_f32 v24, v23, 0xbf5db3d7, v45
	v_fmac_f32_e32 v45, 0x3f5db3d7, v23
	v_add_f32_e32 v23, v32, v84
	v_add_f32_e32 v32, v83, v81
	v_fmamk_f32 v70, v22, 0xbf5db3d7, v44
	v_fmac_f32_e32 v44, 0x3f5db3d7, v22
	v_add_f32_e32 v22, v82, v80
	v_add_f32_e32 v72, v43, v83
	v_fmac_f32_e32 v43, -0.5, v32
	v_add_f32_e32 v32, v38, v82
	v_sub_f32_e32 v18, v18, v20
	v_fmac_f32_e32 v38, -0.5, v22
	v_sub_f32_e32 v19, v19, v21
	v_add_f32_e32 v21, v72, v81
	v_add_f32_e32 v22, v78, v62
	v_sub_f32_e32 v14, v14, v16
	v_fmamk_f32 v72, v18, 0xbf5db3d7, v38
	v_fmac_f32_e32 v38, 0x3f5db3d7, v18
	v_add_f32_e32 v18, v79, v77
	v_fmamk_f32 v20, v19, 0xbf5db3d7, v43
	v_fmac_f32_e32 v43, 0x3f5db3d7, v19
	v_add_f32_e32 v19, v32, v80
	v_add_f32_e32 v32, v36, v78
	;; [unrolled: 1-line block ×3, first 2 shown]
	v_fmac_f32_e32 v30, -0.5, v18
	v_sub_f32_e32 v15, v15, v17
	v_add_f32_e32 v60, v60, v86
	v_fmac_f32_e32 v36, -0.5, v22
	v_add_f32_e32 v17, v32, v62
	v_add_f32_e32 v32, v16, v77
	v_fmamk_f32 v62, v15, 0xbf5db3d7, v30
	v_fmac_f32_e32 v30, 0x3f5db3d7, v15
	v_fmamk_f32 v18, v14, 0xbf5db3d7, v36
	v_fmac_f32_e32 v36, 0x3f5db3d7, v14
	s_waitcnt lgkmcnt(0)
	s_barrier
	buffer_gl0_inv
	ds_write2_b32 v69, v60, v71 offset1:4
	ds_write_b32 v69, v59 offset:32
	ds_write2_b32 v68, v25, v24 offset1:4
	ds_write_b32 v68, v45 offset:32
	;; [unrolled: 2-line block ×6, first 2 shown]
	s_and_saveexec_b32 s1, s0
	s_cbranch_execz .LBB0_23
; %bb.22:
	v_mul_lo_u32 v14, v63, 12
	v_or_b32_e32 v14, v14, v61
	v_lshl_add_u32 v14, v14, 2, 0
	ds_write2_b32 v14, v32, v62 offset1:4
	ds_write_b32 v14, v30 offset:32
.LBB0_23:
	s_or_b32 exec_lo, exec_lo, s1
	v_add_nc_u32_e32 v14, 0x400, v51
	v_add_nc_u32_e32 v15, 0xc00, v51
	v_add_nc_u32_e32 v16, 0x800, v51
	v_add_nc_u32_e32 v17, 0xe00, v51
	s_waitcnt lgkmcnt(0)
	s_barrier
	buffer_gl0_inv
	ds_read2_b32 v[22:23], v14 offset0:164 offset1:227
	v_add_nc_u32_e32 v14, 0x1000, v51
	ds_read2_b32 v[24:25], v15 offset0:72 offset1:135
	ds_read2_b32 v[20:21], v16 offset0:34 offset1:97
	;; [unrolled: 1-line block ×5, first 2 shown]
	ds_read_b32 v61, v51
	ds_read_b32 v60, v29
	;; [unrolled: 1-line block ×6, first 2 shown]
	s_and_saveexec_b32 s1, s0
	s_cbranch_execz .LBB0_25
; %bb.24:
	ds_read_b32 v62, v51 offset:3192
	ds_read_b32 v32, v58
	ds_read_b32 v30, v51 offset:4872
.LBB0_25:
	s_or_b32 exec_lo, exec_lo, s1
	v_and_b32_e32 v33, 0xff, v47
	v_and_b32_e32 v36, 0xff, v48
	;; [unrolled: 1-line block ×3, first 2 shown]
	v_mov_b32_e32 v64, 0xaaab
	v_mov_b32_e32 v58, 4
	v_mul_lo_u16 v63, 0xab, v33
	v_and_b32_e32 v33, 0xff, v52
	v_mul_lo_u16 v66, 0xab, v36
	v_mul_lo_u16 v65, 0xab, v38
	v_mul_u32_u24_sdwa v68, v55, v64 dst_sel:DWORD dst_unused:UNUSED_PAD src0_sel:WORD_0 src1_sel:DWORD
	v_lshrrev_b16 v63, 11, v63
	v_mul_lo_u16 v67, 0xab, v33
	v_lshrrev_b16 v66, 11, v66
	v_lshrrev_b16 v65, 11, v65
	v_mul_u32_u24_sdwa v69, v54, v64 dst_sel:DWORD dst_unused:UNUSED_PAD src0_sel:WORD_0 src1_sel:DWORD
	v_mul_lo_u16 v70, v63, 12
	v_lshrrev_b16 v67, 11, v67
	v_mul_lo_u16 v72, v66, 12
	v_mul_lo_u16 v71, v65, 12
	v_lshrrev_b32_e32 v68, 19, v68
	v_sub_nc_u16 v70, v47, v70
	v_mul_lo_u16 v74, v67, 12
	v_sub_nc_u16 v72, v48, v72
	v_sub_nc_u16 v71, v50, v71
	v_mul_u32_u24_sdwa v64, v53, v64 dst_sel:DWORD dst_unused:UNUSED_PAD src0_sel:WORD_0 src1_sel:DWORD
	v_lshlrev_b32_sdwa v73, v58, v70 dst_sel:DWORD dst_unused:UNUSED_PAD src0_sel:DWORD src1_sel:BYTE_0
	v_sub_nc_u16 v76, v52, v74
	v_lshlrev_b32_sdwa v74, v58, v72 dst_sel:DWORD dst_unused:UNUSED_PAD src0_sel:DWORD src1_sel:BYTE_0
	v_lshrrev_b32_e32 v69, 19, v69
	v_lshlrev_b32_sdwa v75, v58, v71 dst_sel:DWORD dst_unused:UNUSED_PAD src0_sel:DWORD src1_sel:BYTE_0
	global_load_dwordx4 v[83:86], v73, s[8:9] offset:80
	v_lshrrev_b32_e32 v64, 19, v64
	global_load_dwordx4 v[91:94], v74, s[8:9] offset:80
	v_mul_lo_u16 v73, v68, 12
	global_load_dwordx4 v[87:90], v75, s[8:9] offset:80
	v_mul_lo_u16 v75, v69, 12
	v_mul_lo_u16 v74, v64, 12
	v_mul_u32_u24_e32 v68, 0x90, v68
	v_sub_nc_u16 v73, v55, v73
	v_lshlrev_b32_sdwa v55, v58, v76 dst_sel:DWORD dst_unused:UNUSED_PAD src0_sel:DWORD src1_sel:BYTE_0
	v_sub_nc_u16 v75, v54, v75
	v_sub_nc_u16 v53, v53, v74
	v_mov_b32_e32 v74, 2
	v_lshlrev_b32_sdwa v54, v58, v73 dst_sel:DWORD dst_unused:UNUSED_PAD src0_sel:DWORD src1_sel:WORD_0
	global_load_dwordx4 v[95:98], v55, s[8:9] offset:80
	v_mul_u32_u24_e32 v69, 0x90, v69
	global_load_dwordx4 v[99:102], v54, s[8:9] offset:80
	v_lshlrev_b32_sdwa v55, v58, v75 dst_sel:DWORD dst_unused:UNUSED_PAD src0_sel:DWORD src1_sel:WORD_0
	v_lshlrev_b32_sdwa v54, v58, v53 dst_sel:DWORD dst_unused:UNUSED_PAD src0_sel:DWORD src1_sel:WORD_0
	s_clause 0x1
	global_load_dwordx4 v[103:106], v55, s[8:9] offset:80
	global_load_dwordx4 v[107:110], v54, s[8:9] offset:80
	v_mov_b32_e32 v54, 0x90
	v_sub_nc_u32_e32 v55, 0, v57
	s_waitcnt vmcnt(0) lgkmcnt(0)
	s_barrier
	buffer_gl0_inv
	v_mul_u32_u24_sdwa v57, v63, v54 dst_sel:DWORD dst_unused:UNUSED_PAD src0_sel:WORD_0 src1_sel:DWORD
	v_mul_u32_u24_sdwa v58, v65, v54 dst_sel:DWORD dst_unused:UNUSED_PAD src0_sel:WORD_0 src1_sel:DWORD
	;; [unrolled: 1-line block ×4, first 2 shown]
	v_mul_lo_u16 v54, v64, 36
	v_lshlrev_b32_sdwa v64, v74, v70 dst_sel:DWORD dst_unused:UNUSED_PAD src0_sel:DWORD src1_sel:BYTE_0
	v_lshlrev_b32_sdwa v65, v74, v71 dst_sel:DWORD dst_unused:UNUSED_PAD src0_sel:DWORD src1_sel:BYTE_0
	;; [unrolled: 1-line block ×4, first 2 shown]
	v_lshlrev_b32_sdwa v72, v74, v73 dst_sel:DWORD dst_unused:UNUSED_PAD src0_sel:DWORD src1_sel:WORD_0
	v_lshlrev_b32_sdwa v73, v74, v75 dst_sel:DWORD dst_unused:UNUSED_PAD src0_sel:DWORD src1_sel:WORD_0
	v_add3_u32 v66, 0, v57, v64
	v_add3_u32 v65, 0, v58, v65
	;; [unrolled: 1-line block ×6, first 2 shown]
	v_mul_f32_e32 v82, v22, v84
	v_mul_f32_e32 v81, v10, v84
	;; [unrolled: 1-line block ×12, first 2 shown]
	v_fma_f32 v82, v10, v83, -v82
	v_fmac_f32_e32 v81, v22, v83
	v_mul_f32_e32 v94, v21, v96
	v_mul_f32_e32 v75, v9, v96
	;; [unrolled: 1-line block ×8, first 2 shown]
	v_fma_f32 v83, v12, v85, -v84
	v_mul_f32_e32 v102, v17, v104
	v_mul_f32_e32 v70, v5, v104
	;; [unrolled: 1-line block ×8, first 2 shown]
	v_fma_f32 v12, v11, v87, -v86
	v_fma_f32 v22, v13, v89, -v88
	;; [unrolled: 1-line block ×9, first 2 shown]
	v_fmac_f32_e32 v78, v24, v85
	v_fmac_f32_e32 v80, v23, v87
	v_fma_f32 v10, v7, v97, -v96
	v_fma_f32 v7, v4, v99, -v98
	;; [unrolled: 1-line block ×3, first 2 shown]
	v_fmac_f32_e32 v69, v15, v105
	v_fmac_f32_e32 v68, v62, v107
	;; [unrolled: 1-line block ×3, first 2 shown]
	v_add_f32_e32 v15, v82, v83
	v_add_f32_e32 v87, v5, v6
	v_fmac_f32_e32 v77, v25, v89
	v_fmac_f32_e32 v76, v18, v93
	v_add_f32_e32 v18, v12, v22
	v_fmac_f32_e32 v79, v20, v91
	v_fmac_f32_e32 v75, v21, v95
	v_add_f32_e32 v21, v11, v13
	v_fmac_f32_e32 v72, v19, v97
	v_fmac_f32_e32 v73, v16, v99
	v_fmac_f32_e32 v71, v14, v101
	v_fmac_f32_e32 v70, v17, v103
	v_add_f32_e32 v3, v41, v82
	v_sub_f32_e32 v16, v81, v78
	v_add_f32_e32 v25, v8, v10
	v_add_f32_e32 v46, v7, v9
	v_add_f32_e32 v85, v2, v4
	v_sub_f32_e32 v14, v68, v67
	v_fmac_f32_e32 v41, -0.5, v15
	v_fma_f32 v15, -0.5, v87, v31
	v_add_f32_e32 v17, v40, v12
	v_sub_f32_e32 v19, v80, v77
	v_fmac_f32_e32 v40, -0.5, v18
	v_add_f32_e32 v20, v39, v11
	v_sub_f32_e32 v23, v79, v76
	v_fmac_f32_e32 v39, -0.5, v21
	v_add_f32_e32 v24, v37, v8
	v_sub_f32_e32 v30, v75, v72
	v_add_f32_e32 v42, v35, v7
	v_sub_f32_e32 v62, v73, v71
	;; [unrolled: 2-line block ×3, first 2 shown]
	v_add_f32_e32 v88, v3, v83
	v_fmac_f32_e32 v37, -0.5, v25
	v_fmac_f32_e32 v35, -0.5, v46
	v_fmac_f32_e32 v34, -0.5, v85
	v_fmamk_f32 v25, v16, 0x3f5db3d7, v41
	v_fmamk_f32 v3, v14, 0xbf5db3d7, v15
	v_fmac_f32_e32 v41, 0xbf5db3d7, v16
	v_add_f32_e32 v17, v17, v22
	v_fmamk_f32 v16, v19, 0x3f5db3d7, v40
	v_fmac_f32_e32 v40, 0xbf5db3d7, v19
	v_add_f32_e32 v18, v20, v13
	v_fmamk_f32 v19, v23, 0x3f5db3d7, v39
	v_add_f32_e32 v20, v24, v10
	v_add_f32_e32 v21, v42, v9
	v_add_f32_e32 v24, v84, v4
	v_fmac_f32_e32 v39, 0xbf5db3d7, v23
	v_fmamk_f32 v23, v30, 0x3f5db3d7, v37
	v_fmac_f32_e32 v37, 0xbf5db3d7, v30
	v_fmamk_f32 v30, v62, 0x3f5db3d7, v35
	;; [unrolled: 2-line block ×3, first 2 shown]
	v_fmac_f32_e32 v34, 0xbf5db3d7, v86
	ds_write2_b32 v66, v88, v25 offset1:12
	ds_write_b32 v66, v41 offset:96
	ds_write2_b32 v65, v17, v16 offset1:12
	ds_write_b32 v65, v40 offset:96
	;; [unrolled: 2-line block ×6, first 2 shown]
	s_and_saveexec_b32 s1, s0
	s_cbranch_execz .LBB0_27
; %bb.26:
	v_mul_f32_e32 v14, 0x3f5db3d7, v14
	v_add_f32_e32 v16, v31, v5
	v_lshlrev_b32_sdwa v17, v74, v53 dst_sel:DWORD dst_unused:UNUSED_PAD src0_sel:DWORD src1_sel:WORD_0
	v_lshlrev_b32_sdwa v18, v74, v54 dst_sel:DWORD dst_unused:UNUSED_PAD src0_sel:DWORD src1_sel:WORD_0
	v_add_f32_e32 v14, v14, v15
	v_add_f32_e32 v15, v16, v6
	v_add3_u32 v16, 0, v17, v18
	ds_write2_b32 v16, v15, v14 offset1:12
	ds_write_b32 v16, v3 offset:96
.LBB0_27:
	s_or_b32 exec_lo, exec_lo, s1
	v_add_f32_e32 v14, v81, v78
	v_add_f32_e32 v17, v80, v77
	;; [unrolled: 1-line block ×4, first 2 shown]
	v_sub_f32_e32 v12, v12, v22
	v_fmac_f32_e32 v61, -0.5, v14
	v_add_f32_e32 v14, v60, v80
	v_fmac_f32_e32 v60, -0.5, v17
	v_sub_f32_e32 v11, v11, v13
	v_add_f32_e32 v13, v45, v75
	v_sub_f32_e32 v8, v8, v10
	v_add_f32_e32 v62, v14, v77
	v_add_f32_e32 v14, v59, v79
	v_fmac_f32_e32 v59, -0.5, v18
	v_fmamk_f32 v74, v12, 0xbf5db3d7, v60
	v_fmac_f32_e32 v60, 0x3f5db3d7, v12
	v_add_f32_e32 v12, v75, v72
	v_sub_f32_e32 v7, v7, v9
	v_fmamk_f32 v77, v11, 0xbf5db3d7, v59
	v_fmac_f32_e32 v59, 0x3f5db3d7, v11
	v_add_f32_e32 v11, v73, v71
	v_fmac_f32_e32 v45, -0.5, v12
	v_add_f32_e32 v9, v68, v67
	v_add_f32_e32 v10, v44, v73
	v_sub_f32_e32 v16, v82, v83
	v_fmac_f32_e32 v44, -0.5, v11
	v_fmamk_f32 v73, v8, 0xbf5db3d7, v45
	v_fmac_f32_e32 v45, 0x3f5db3d7, v8
	v_add_f32_e32 v8, v70, v69
	v_fma_f32 v40, -0.5, v9, v32
	v_add_nc_u32_e32 v9, v56, v55
	v_add_nc_u32_e32 v30, 0xa00, v51
	v_sub_f32_e32 v41, v5, v6
	v_add_nc_u32_e32 v6, 0xe00, v51
	v_add_nc_u32_e32 v31, 0x400, v51
	;; [unrolled: 1-line block ×3, first 2 shown]
	v_fmamk_f32 v75, v7, 0xbf5db3d7, v44
	v_fmac_f32_e32 v44, 0x3f5db3d7, v7
	v_add_f32_e32 v7, v43, v70
	v_fmac_f32_e32 v43, -0.5, v8
	v_add_nc_u32_e32 v8, 0x600, v51
	v_add_nc_u32_e32 v25, 0xc00, v51
	v_add_f32_e32 v42, v15, v78
	v_fmamk_f32 v46, v16, 0xbf5db3d7, v61
	v_fmac_f32_e32 v61, 0x3f5db3d7, v16
	v_add_f32_e32 v76, v14, v76
	v_add_f32_e32 v72, v13, v72
	;; [unrolled: 1-line block ×3, first 2 shown]
	v_sub_f32_e32 v70, v2, v4
	s_waitcnt lgkmcnt(0)
	s_barrier
	buffer_gl0_inv
	ds_read_b32 v2, v9
	ds_read2_b32 v[12:13], v30 offset0:116 offset1:179
	ds_read2_b32 v[10:11], v6 offset0:112 offset1:175
	;; [unrolled: 1-line block ×4, first 2 shown]
	v_add_nc_u32_e32 v39, 0x1000, v51
	ds_read_b32 v37, v51
	ds_read_b32 v35, v29
	ds_read_b32 v34, v28
	ds_read2_b32 v[20:21], v24 offset0:118 offset1:181
	ds_read2_b32 v[18:19], v25 offset0:114 offset1:177
	;; [unrolled: 1-line block ×3, first 2 shown]
	ds_read_b32 v4, v27
	ds_read_b32 v5, v26
	v_add_f32_e32 v55, v7, v69
	v_fmamk_f32 v7, v41, 0x3f5db3d7, v40
	v_fmamk_f32 v56, v70, 0xbf5db3d7, v43
	v_fmac_f32_e32 v43, 0x3f5db3d7, v70
	s_waitcnt lgkmcnt(0)
	s_barrier
	buffer_gl0_inv
	ds_write2_b32 v66, v42, v46 offset1:12
	ds_write_b32 v66, v61 offset:96
	ds_write2_b32 v65, v62, v74 offset1:12
	ds_write_b32 v65, v60 offset:96
	;; [unrolled: 2-line block ×6, first 2 shown]
	s_and_saveexec_b32 s1, s0
	s_cbranch_execz .LBB0_29
; %bb.28:
	v_mov_b32_e32 v42, 2
	v_mul_f32_e32 v41, 0x3f5db3d7, v41
	v_add_f32_e32 v32, v32, v68
	v_lshlrev_b32_sdwa v43, v42, v53 dst_sel:DWORD dst_unused:UNUSED_PAD src0_sel:DWORD src1_sel:WORD_0
	v_lshlrev_b32_sdwa v42, v42, v54 dst_sel:DWORD dst_unused:UNUSED_PAD src0_sel:DWORD src1_sel:WORD_0
	v_add_f32_e32 v32, v32, v67
	v_sub_f32_e32 v40, v40, v41
	v_add3_u32 v41, 0, v43, v42
	ds_write2_b32 v41, v32, v40 offset1:12
	ds_write_b32 v41, v7 offset:96
.LBB0_29:
	s_or_b32 exec_lo, exec_lo, s1
	v_mul_lo_u16 v32, v38, 57
	v_mul_lo_u16 v33, v33, 57
	v_subrev_nc_u32_e32 v55, 36, v47
	v_cmp_gt_u32_e64 s0, 36, v47
	s_waitcnt lgkmcnt(0)
	v_lshrrev_b16 v38, 11, v32
	v_mul_lo_u16 v32, v36, 57
	v_lshrrev_b16 v53, 11, v33
	s_barrier
	buffer_gl0_inv
	v_mul_lo_u16 v36, v38, 36
	v_lshrrev_b16 v46, 11, v32
	v_mov_b32_e32 v32, 5
	v_mul_lo_u16 v33, v53, 36
	v_sub_nc_u16 v36, v50, v36
	v_mul_lo_u16 v40, v46, 36
	v_sub_nc_u16 v52, v52, v33
	v_cndmask_b32_e64 v33, v55, v47, s0
	v_lshlrev_b32_sdwa v44, v32, v36 dst_sel:DWORD dst_unused:UNUSED_PAD src0_sel:DWORD src1_sel:BYTE_0
	v_sub_nc_u16 v54, v48, v40
	v_lshlrev_b32_sdwa v55, v32, v52 dst_sel:DWORD dst_unused:UNUSED_PAD src0_sel:DWORD src1_sel:BYTE_0
	s_clause 0x1
	global_load_dwordx4 v[40:43], v44, s[8:9] offset:272
	global_load_dwordx4 v[62:65], v44, s[8:9] offset:288
	v_lshlrev_b32_sdwa v45, v32, v54 dst_sel:DWORD dst_unused:UNUSED_PAD src0_sel:DWORD src1_sel:BYTE_0
	v_lshlrev_b32_e32 v44, 2, v33
	s_clause 0x3
	global_load_dwordx4 v[80:83], v55, s[8:9] offset:272
	global_load_dwordx4 v[84:87], v55, s[8:9] offset:288
	global_load_dwordx4 v[72:75], v45, s[8:9] offset:272
	global_load_dwordx4 v[76:79], v45, s[8:9] offset:288
	v_mov_b32_e32 v45, 0
	v_lshlrev_b64 v[32:33], 3, v[44:45]
	v_add_co_u32 v32, s0, s8, v32
	v_add_co_ci_u32_e64 v33, s0, s9, v33, s0
	s_clause 0x1
	global_load_dwordx4 v[88:91], v[32:33], off offset:272
	global_load_dwordx4 v[92:95], v[32:33], off offset:288
	ds_read2_b32 v[96:97], v30 offset0:116 offset1:179
	ds_read2_b32 v[98:99], v6 offset0:112 offset1:175
	;; [unrolled: 1-line block ×4, first 2 shown]
	ds_read_b32 v32, v51
	ds_read_b32 v31, v29
	;; [unrolled: 1-line block ×3, first 2 shown]
	ds_read2_b32 v[102:103], v24 offset0:118 offset1:181
	ds_read2_b32 v[104:105], v25 offset0:114 offset1:177
	;; [unrolled: 1-line block ×3, first 2 shown]
	ds_read_b32 v108, v9
	ds_read_b32 v109, v27
	;; [unrolled: 1-line block ×3, first 2 shown]
	v_cmp_lt_u32_e64 s0, 35, v47
	v_mov_b32_e32 v33, 0x2d0
	v_mov_b32_e32 v26, 2
	s_waitcnt vmcnt(0) lgkmcnt(0)
	s_barrier
	v_cndmask_b32_e64 v27, 0, 0x2d0, s0
	v_mul_u32_u24_sdwa v39, v38, v33 dst_sel:DWORD dst_unused:UNUSED_PAD src0_sel:WORD_0 src1_sel:DWORD
	v_lshlrev_b32_sdwa v36, v26, v36 dst_sel:DWORD dst_unused:UNUSED_PAD src0_sel:DWORD src1_sel:BYTE_0
	v_mul_u32_u24_sdwa v45, v46, v33 dst_sel:DWORD dst_unused:UNUSED_PAD src0_sel:WORD_0 src1_sel:DWORD
	v_mul_u32_u24_sdwa v46, v53, v33 dst_sel:DWORD dst_unused:UNUSED_PAD src0_sel:WORD_0 src1_sel:DWORD
	v_lshlrev_b32_sdwa v53, v26, v54 dst_sel:DWORD dst_unused:UNUSED_PAD src0_sel:DWORD src1_sel:BYTE_0
	v_lshlrev_b32_sdwa v26, v26, v52 dst_sel:DWORD dst_unused:UNUSED_PAD src0_sel:DWORD src1_sel:BYTE_0
	v_add3_u32 v38, 0, v27, v44
	v_add3_u32 v36, 0, v39, v36
	v_add_nc_u32_e32 v33, 0x200, v51
	v_add3_u32 v27, 0, v45, v53
	v_add3_u32 v26, 0, v46, v26
	buffer_gl0_inv
	v_cmp_gt_u32_e64 s0, 54, v47
	v_mul_f32_e32 v44, v101, v43
	v_mul_f32_e32 v59, v15, v43
	;; [unrolled: 1-line block ×14, first 2 shown]
	v_fma_f32 v66, v15, v42, -v44
	v_fmac_f32_e32 v59, v101, v42
	v_fma_f32 v67, v13, v62, -v43
	v_fmac_f32_e32 v60, v97, v62
	v_fma_f32 v62, v23, v72, -v58
	v_mul_f32_e32 v54, v18, v77
	v_fma_f32 v68, v22, v40, -v39
	v_fmac_f32_e32 v41, v56, v40
	v_fma_f32 v63, v20, v74, -v63
	v_mul_f32_e32 v77, v100, v81
	v_mul_f32_e32 v15, v103, v83
	;; [unrolled: 1-line block ×7, first 2 shown]
	v_fma_f32 v69, v11, v64, -v46
	v_fmac_f32_e32 v61, v99, v64
	v_mul_f32_e32 v11, v107, v87
	v_mul_f32_e32 v70, v4, v89
	v_fmac_f32_e32 v52, v57, v72
	v_mul_f32_e32 v71, v12, v93
	v_mul_f32_e32 v72, v10, v95
	v_fma_f32 v64, v18, v76, -v65
	v_fma_f32 v65, v16, v78, -v75
	;; [unrolled: 1-line block ×4, first 2 shown]
	v_mul_f32_e32 v73, v2, v91
	v_fmac_f32_e32 v53, v102, v74
	v_fmac_f32_e32 v54, v104, v76
	v_fma_f32 v74, v4, v88, -v40
	v_fma_f32 v76, v10, v94, -v20
	v_mul_f32_e32 v55, v16, v79
	v_mul_f32_e32 v44, v14, v81
	;; [unrolled: 1-line block ×5, first 2 shown]
	v_fma_f32 v13, v14, v80, -v77
	v_fma_f32 v56, v21, v82, -v15
	;; [unrolled: 1-line block ×4, first 2 shown]
	v_fmac_f32_e32 v70, v109, v88
	v_fmac_f32_e32 v72, v98, v94
	v_add_f32_e32 v4, v66, v67
	v_add_f32_e32 v16, v68, v69
	v_sub_f32_e32 v17, v66, v68
	v_sub_f32_e32 v18, v67, v69
	;; [unrolled: 1-line block ×4, first 2 shown]
	v_add_f32_e32 v89, v75, v12
	v_fmac_f32_e32 v73, v108, v90
	v_fmac_f32_e32 v71, v96, v92
	v_add_f32_e32 v94, v74, v76
	v_fmac_f32_e32 v55, v106, v78
	v_fmac_f32_e32 v44, v100, v80
	v_fmac_f32_e32 v45, v103, v82
	v_fmac_f32_e32 v46, v105, v84
	v_fmac_f32_e32 v39, v107, v86
	v_add_f32_e32 v2, v35, v68
	v_sub_f32_e32 v11, v68, v66
	v_sub_f32_e32 v15, v69, v67
	v_add_f32_e32 v19, v34, v62
	v_add_f32_e32 v20, v63, v64
	;; [unrolled: 1-line block ×6, first 2 shown]
	v_sub_f32_e32 v86, v56, v13
	v_sub_f32_e32 v87, v57, v58
	v_add_f32_e32 v88, v37, v74
	v_sub_f32_e32 v90, v70, v72
	v_fma_f32 v98, -0.5, v4, v35
	v_fmac_f32_e32 v35, -0.5, v16
	v_add_f32_e32 v16, v17, v18
	v_add_f32_e32 v17, v23, v42
	v_fma_f32 v42, -0.5, v89, v37
	v_sub_f32_e32 v91, v73, v71
	v_fmac_f32_e32 v37, -0.5, v94
	v_sub_f32_e32 v10, v41, v61
	v_sub_f32_e32 v14, v59, v60
	;; [unrolled: 1-line block ×10, first 2 shown]
	v_add_f32_e32 v97, v2, v66
	v_add_f32_e32 v15, v11, v15
	;; [unrolled: 1-line block ×3, first 2 shown]
	v_fma_f32 v40, -0.5, v20, v34
	v_fmac_f32_e32 v34, -0.5, v43
	v_add_f32_e32 v11, v79, v56
	v_fma_f32 v2, -0.5, v80, v5
	v_fmac_f32_e32 v5, -0.5, v85
	v_add_f32_e32 v20, v86, v87
	v_add_f32_e32 v23, v88, v75
	v_fmamk_f32 v87, v90, 0x3f737871, v42
	v_sub_f32_e32 v77, v63, v62
	v_sub_f32_e32 v78, v64, v65
	;; [unrolled: 1-line block ×4, first 2 shown]
	v_fmamk_f32 v88, v91, 0xbf737871, v37
	v_fmac_f32_e32 v37, 0x3f737871, v91
	v_fmac_f32_e32 v42, 0xbf737871, v90
	v_fmamk_f32 v79, v10, 0x3f737871, v98
	v_fmamk_f32 v80, v14, 0xbf737871, v35
	v_fmac_f32_e32 v35, 0x3f737871, v14
	v_add_f32_e32 v19, v83, v84
	v_add_f32_e32 v43, v92, v93
	v_fmac_f32_e32 v98, 0xbf737871, v10
	v_add_f32_e32 v83, v4, v64
	v_fmamk_f32 v84, v21, 0x3f737871, v40
	v_fmac_f32_e32 v40, 0xbf737871, v21
	v_fmamk_f32 v85, v22, 0xbf737871, v34
	v_fmac_f32_e32 v34, 0x3f737871, v22
	v_add_f32_e32 v86, v11, v57
	v_fmamk_f32 v11, v81, 0x3f737871, v2
	v_fmac_f32_e32 v2, 0xbf737871, v81
	v_fmamk_f32 v4, v82, 0xbf737871, v5
	v_fmac_f32_e32 v5, 0x3f737871, v82
	v_add_f32_e32 v23, v23, v12
	v_fmac_f32_e32 v87, 0x3f167918, v91
	v_add_f32_e32 v18, v77, v78
	v_add_f32_e32 v77, v95, v96
	v_fmac_f32_e32 v88, 0x3f167918, v90
	v_fmac_f32_e32 v37, 0xbf167918, v90
	;; [unrolled: 1-line block ×3, first 2 shown]
	v_add_f32_e32 v78, v97, v67
	v_fmac_f32_e32 v79, 0x3f167918, v14
	v_fmac_f32_e32 v80, 0x3f167918, v10
	v_fmac_f32_e32 v35, 0xbf167918, v10
	v_fmac_f32_e32 v98, 0xbf167918, v14
	v_fmac_f32_e32 v84, 0x3f167918, v22
	v_fmac_f32_e32 v40, 0xbf167918, v22
	v_fmac_f32_e32 v85, 0x3f167918, v21
	v_fmac_f32_e32 v34, 0xbf167918, v21
	v_fmac_f32_e32 v11, 0x3f167918, v82
	v_fmac_f32_e32 v2, 0xbf167918, v82
	v_fmac_f32_e32 v4, 0x3f167918, v81
	v_fmac_f32_e32 v5, 0xbf167918, v81
	v_add_f32_e32 v21, v23, v76
	v_fmac_f32_e32 v87, 0x3e9e377a, v43
	v_fmac_f32_e32 v88, 0x3e9e377a, v77
	;; [unrolled: 1-line block ×4, first 2 shown]
	v_add_f32_e32 v78, v78, v69
	v_fmac_f32_e32 v79, 0x3e9e377a, v15
	v_add_f32_e32 v14, v83, v65
	v_fmac_f32_e32 v80, 0x3e9e377a, v16
	v_fmac_f32_e32 v35, 0x3e9e377a, v16
	v_add_f32_e32 v10, v86, v58
	v_fmac_f32_e32 v98, 0x3e9e377a, v15
	v_fmac_f32_e32 v84, 0x3e9e377a, v17
	;; [unrolled: 1-line block ×9, first 2 shown]
	ds_write2_b32 v38, v21, v87 offset1:36
	ds_write2_b32 v38, v88, v37 offset0:72 offset1:108
	ds_write_b32 v38, v42 offset:576
	ds_write2_b32 v36, v78, v79 offset1:36
	ds_write2_b32 v36, v80, v35 offset0:72 offset1:108
	ds_write_b32 v36, v98 offset:576
	;; [unrolled: 3-line block ×4, first 2 shown]
	s_waitcnt lgkmcnt(0)
	s_barrier
	buffer_gl0_inv
	ds_read2_b32 v[14:15], v51 offset1:180
	ds_read2_b32 v[16:17], v33 offset0:115 offset1:232
	ds_read2_b32 v[18:19], v8 offset0:39 offset1:156
	;; [unrolled: 1-line block ×5, first 2 shown]
	ds_read_b32 v42, v29
	ds_read_b32 v43, v51 offset:4572
	s_and_saveexec_b32 s1, s0
	s_cbranch_execz .LBB0_31
; %bb.30:
	v_add_nc_u32_e32 v2, 0x400, v51
	v_add_nc_u32_e32 v3, 0xa00, v51
	;; [unrolled: 1-line block ×3, first 2 shown]
	ds_read_b32 v40, v28
	ds_read2_b32 v[10:11], v2 offset0:50 offset1:230
	ds_read2_b32 v[4:5], v3 offset0:26 offset1:206
	;; [unrolled: 1-line block ×3, first 2 shown]
.LBB0_31:
	s_or_b32 exec_lo, exec_lo, s1
	v_add_f32_e32 v8, v32, v70
	v_add_f32_e32 v6, v73, v71
	v_sub_f32_e32 v34, v74, v76
	v_sub_f32_e32 v35, v70, v73
	;; [unrolled: 1-line block ×3, first 2 shown]
	v_add_f32_e32 v8, v8, v73
	v_fma_f32 v37, -0.5, v6, v32
	v_sub_f32_e32 v6, v72, v71
	v_add_f32_e32 v74, v70, v72
	v_sub_f32_e32 v70, v73, v70
	v_add_f32_e32 v8, v8, v71
	v_fmamk_f32 v73, v34, 0xbf737871, v37
	v_add_f32_e32 v6, v35, v6
	v_fmac_f32_e32 v37, 0x3f737871, v34
	v_sub_f32_e32 v35, v71, v72
	v_add_f32_e32 v72, v8, v72
	v_add_f32_e32 v8, v31, v41
	v_fmac_f32_e32 v32, -0.5, v74
	v_fmac_f32_e32 v73, 0xbf167918, v12
	v_fmac_f32_e32 v37, 0x3f167918, v12
	v_add_f32_e32 v74, v59, v60
	v_add_f32_e32 v8, v8, v59
	v_fmamk_f32 v71, v12, 0x3f737871, v32
	v_fmac_f32_e32 v73, 0x3e9e377a, v6
	v_add_f32_e32 v35, v70, v35
	v_fmac_f32_e32 v32, 0xbf737871, v12
	v_fma_f32 v70, -0.5, v74, v31
	v_sub_f32_e32 v12, v68, v69
	v_fmac_f32_e32 v37, 0x3e9e377a, v6
	v_add_f32_e32 v6, v8, v60
	v_add_f32_e32 v8, v41, v61
	v_fmac_f32_e32 v71, 0xbf167918, v34
	v_fmac_f32_e32 v32, 0x3f167918, v34
	v_fmamk_f32 v34, v12, 0xbf737871, v70
	v_sub_f32_e32 v66, v66, v67
	v_sub_f32_e32 v67, v41, v59
	;; [unrolled: 1-line block ×3, first 2 shown]
	v_fmac_f32_e32 v31, -0.5, v8
	v_fmac_f32_e32 v70, 0x3f737871, v12
	v_sub_f32_e32 v8, v59, v41
	v_sub_f32_e32 v41, v60, v61
	v_add_f32_e32 v59, v53, v54
	v_fmac_f32_e32 v71, 0x3e9e377a, v35
	v_fmac_f32_e32 v32, 0x3e9e377a, v35
	v_add_f32_e32 v35, v6, v61
	v_fmac_f32_e32 v34, 0xbf167918, v66
	v_add_f32_e32 v6, v67, v68
	v_fmamk_f32 v67, v66, 0x3f737871, v31
	v_fmac_f32_e32 v70, 0x3f167918, v66
	v_add_f32_e32 v8, v8, v41
	v_fmac_f32_e32 v31, 0xbf737871, v66
	v_add_f32_e32 v60, v30, v52
	v_fma_f32 v41, -0.5, v59, v30
	v_sub_f32_e32 v59, v62, v65
	v_fmac_f32_e32 v34, 0x3e9e377a, v6
	v_fmac_f32_e32 v67, 0xbf167918, v12
	;; [unrolled: 1-line block ×4, first 2 shown]
	v_add_f32_e32 v6, v60, v53
	v_fmamk_f32 v60, v59, 0xbf737871, v41
	v_sub_f32_e32 v12, v63, v64
	v_sub_f32_e32 v61, v52, v53
	;; [unrolled: 1-line block ×3, first 2 shown]
	v_fmac_f32_e32 v41, 0x3f737871, v59
	v_add_f32_e32 v63, v52, v55
	v_fmac_f32_e32 v67, 0x3e9e377a, v8
	v_add_f32_e32 v6, v6, v54
	v_fmac_f32_e32 v60, 0xbf167918, v12
	v_add_f32_e32 v61, v61, v62
	v_fmac_f32_e32 v41, 0x3f167918, v12
	v_fmac_f32_e32 v30, -0.5, v63
	v_fmac_f32_e32 v31, 0x3e9e377a, v8
	v_sub_f32_e32 v8, v53, v52
	v_sub_f32_e32 v52, v54, v55
	v_add_f32_e32 v62, v6, v55
	v_fmac_f32_e32 v60, 0x3e9e377a, v61
	v_fmac_f32_e32 v41, 0x3e9e377a, v61
	v_fmamk_f32 v61, v12, 0x3f737871, v30
	v_add_f32_e32 v6, v45, v46
	v_fmac_f32_e32 v30, 0xbf737871, v12
	v_add_f32_e32 v8, v8, v52
	v_add_f32_e32 v52, v44, v39
	;; [unrolled: 1-line block ×3, first 2 shown]
	v_fma_f32 v6, -0.5, v6, v9
	v_sub_f32_e32 v53, v13, v58
	v_fmac_f32_e32 v61, 0xbf167918, v59
	v_fmac_f32_e32 v30, 0x3f167918, v59
	v_sub_f32_e32 v54, v56, v57
	v_fmac_f32_e32 v9, -0.5, v52
	v_add_f32_e32 v12, v12, v45
	v_fmamk_f32 v13, v53, 0xbf737871, v6
	v_fmac_f32_e32 v61, 0x3e9e377a, v8
	v_fmac_f32_e32 v30, 0x3e9e377a, v8
	v_sub_f32_e32 v52, v44, v45
	v_sub_f32_e32 v55, v39, v46
	v_fmac_f32_e32 v6, 0x3f737871, v53
	v_fmamk_f32 v8, v54, 0x3f737871, v9
	v_sub_f32_e32 v44, v45, v44
	v_sub_f32_e32 v45, v46, v39
	v_fmac_f32_e32 v9, 0xbf737871, v54
	v_add_f32_e32 v12, v12, v46
	v_fmac_f32_e32 v13, 0xbf167918, v54
	v_add_f32_e32 v46, v52, v55
	v_fmac_f32_e32 v6, 0x3f167918, v54
	v_fmac_f32_e32 v8, 0xbf167918, v53
	v_add_f32_e32 v44, v44, v45
	v_fmac_f32_e32 v9, 0x3f167918, v53
	v_add_f32_e32 v12, v12, v39
	v_fmac_f32_e32 v13, 0x3e9e377a, v46
	v_fmac_f32_e32 v6, 0x3e9e377a, v46
	v_fmac_f32_e32 v8, 0x3e9e377a, v44
	v_fmac_f32_e32 v9, 0x3e9e377a, v44
	s_waitcnt lgkmcnt(0)
	s_barrier
	buffer_gl0_inv
	ds_write2_b32 v38, v72, v73 offset1:36
	ds_write2_b32 v38, v71, v32 offset0:72 offset1:108
	ds_write_b32 v38, v37 offset:576
	ds_write2_b32 v36, v35, v34 offset1:36
	ds_write2_b32 v36, v67, v31 offset0:72 offset1:108
	ds_write_b32 v36, v70 offset:576
	;; [unrolled: 3-line block ×4, first 2 shown]
	v_add_nc_u32_e32 v32, 0x600, v51
	v_add_nc_u32_e32 v34, 0x800, v51
	;; [unrolled: 1-line block ×4, first 2 shown]
	s_waitcnt lgkmcnt(0)
	s_barrier
	buffer_gl0_inv
	ds_read2_b32 v[26:27], v51 offset1:180
	ds_read2_b32 v[30:31], v33 offset0:115 offset1:232
	ds_read2_b32 v[32:33], v32 offset0:39 offset1:156
	;; [unrolled: 1-line block ×5, first 2 shown]
	ds_read_b32 v44, v29
	ds_read_b32 v45, v51 offset:4572
	s_and_saveexec_b32 s1, s0
	s_cbranch_execz .LBB0_33
; %bb.32:
	v_add_nc_u32_e32 v6, 0x400, v51
	v_add_nc_u32_e32 v7, 0xa00, v51
	;; [unrolled: 1-line block ×3, first 2 shown]
	ds_read_b32 v41, v28
	ds_read2_b32 v[12:13], v6 offset0:50 offset1:230
	ds_read2_b32 v[8:9], v7 offset0:26 offset1:206
	ds_read2_b32 v[6:7], v29 offset0:2 offset1:182
.LBB0_33:
	s_or_b32 exec_lo, exec_lo, s1
	s_and_saveexec_b32 s1, vcc_lo
	s_cbranch_execz .LBB0_36
; %bb.34:
	v_mul_u32_u24_e32 v28, 6, v47
	v_mov_b32_e32 v29, 0
	v_add_nc_u32_e32 v100, 0xb4, v47
	v_add_nc_u32_e32 v101, 0x168, v47
	v_add_nc_u32_e32 v102, 0x21c, v47
	v_lshlrev_b32_e32 v46, 3, v28
	v_mul_i32_i24_e32 v28, 6, v50
	v_add_nc_u32_e32 v103, 0x2d0, v47
	v_add_nc_u32_e32 v104, 0x384, v47
	v_mad_u64_u32 v[76:77], null, s2, v49, 0
	s_clause 0x1
	global_load_dwordx4 v[50:53], v46, s[8:9] offset:1456
	global_load_dwordx4 v[54:57], v46, s[8:9] offset:1440
	v_lshlrev_b64 v[58:59], 3, v[28:29]
	v_mad_u64_u32 v[74:75], null, s2, v47, 0
	v_add_nc_u32_e32 v105, 0x438, v47
	v_mad_u64_u32 v[78:79], null, s2, v100, 0
	v_add_co_u32 v66, vcc_lo, s8, v58
	v_add_co_ci_u32_e32 v67, vcc_lo, s9, v59, vcc_lo
	v_add_nc_u32_e32 v106, 0xf3, v47
	s_clause 0x3
	global_load_dwordx4 v[58:61], v[66:67], off offset:1424
	global_load_dwordx4 v[62:65], v[66:67], off offset:1456
	;; [unrolled: 1-line block ×3, first 2 shown]
	global_load_dwordx4 v[70:73], v46, s[8:9] offset:1424
	v_mad_u64_u32 v[80:81], null, s2, v101, 0
	v_mad_u64_u32 v[82:83], null, s2, v102, 0
	v_add_nc_u32_e32 v107, 0x1a7, v47
	v_mad_u64_u32 v[84:85], null, s2, v103, 0
	v_mad_u64_u32 v[86:87], null, s2, v104, 0
	v_add_nc_u32_e32 v109, 0x25b, v47
	v_mad_u64_u32 v[88:89], null, s2, v105, 0
	v_add_nc_u32_e32 v110, 0x30f, v47
	v_mad_u64_u32 v[90:91], null, s2, v106, 0
	v_mov_b32_e32 v46, v77
	v_mad_u64_u32 v[92:93], null, s2, v107, 0
	v_mov_b32_e32 v28, v75
	v_mov_b32_e32 v75, v79
	v_mov_b32_e32 v77, v81
	v_mad_u64_u32 v[94:95], null, s2, v109, 0
	v_mov_b32_e32 v79, v83
	v_mad_u64_u32 v[96:97], null, s2, v110, 0
	v_mov_b32_e32 v81, v85
	v_mov_b32_e32 v83, v87
	v_mad_u64_u32 v[98:99], null, s3, v49, v[46:47]
	v_mov_b32_e32 v46, v89
	v_mad_u64_u32 v[99:100], null, s3, v100, v[75:76]
	v_mad_u64_u32 v[100:101], null, s3, v101, v[77:78]
	v_mov_b32_e32 v49, v91
	v_mad_u64_u32 v[101:102], null, s3, v102, v[79:80]
	;; [unrolled: 3-line block ×3, first 2 shown]
	v_mad_u64_u32 v[104:105], null, s3, v105, v[46:47]
	v_mov_b32_e32 v46, v95
	v_add_nc_u32_e32 v112, 0x3c3, v47
	v_mov_b32_e32 v77, v98
	v_mov_b32_e32 v79, v99
	v_add_co_u32 v0, vcc_lo, s12, v0
	v_add_co_ci_u32_e32 v1, vcc_lo, s13, v1, vcc_lo
	v_mov_b32_e32 v81, v100
	v_lshlrev_b64 v[78:79], 3, v[78:79]
	v_mov_b32_e32 v83, v101
	v_mov_b32_e32 v85, v102
	;; [unrolled: 1-line block ×3, first 2 shown]
	v_lshlrev_b64 v[80:81], 3, v[80:81]
	v_mov_b32_e32 v89, v104
	v_lshlrev_b64 v[82:83], 3, v[82:83]
	v_lshlrev_b64 v[84:85], 3, v[84:85]
	;; [unrolled: 1-line block ×4, first 2 shown]
	s_waitcnt vmcnt(5)
	v_mad_u64_u32 v[105:106], null, s3, v106, v[49:50]
	v_mov_b32_e32 v49, v97
	v_mad_u64_u32 v[106:107], null, s3, v107, v[75:76]
	v_mad_u64_u32 v[107:108], null, s3, v47, v[28:29]
	v_mad_u64_u32 v[108:109], null, s3, v109, v[46:47]
	v_mad_u64_u32 v[109:110], null, s3, v110, v[49:50]
	v_mad_u64_u32 v[110:111], null, s2, v112, 0
	v_add_nc_u32_e32 v46, 0x477, v47
	s_waitcnt vmcnt(4) lgkmcnt(5)
	v_mul_f32_e32 v49, v33, v55
	v_mul_f32_e32 v55, v19, v55
	v_mov_b32_e32 v75, v107
	v_lshlrev_b64 v[76:77], 3, v[76:77]
	v_mov_b32_e32 v91, v105
	v_mov_b32_e32 v28, v111
	v_fma_f32 v19, v19, v54, -v49
	v_fmac_f32_e32 v55, v33, v54
	s_waitcnt vmcnt(2) lgkmcnt(0)
	v_mul_f32_e32 v33, v45, v65
	v_mul_f32_e32 v49, v43, v65
	v_mad_u64_u32 v[111:112], null, s3, v112, v[28:29]
	v_mad_u64_u32 v[112:113], null, s2, v46, 0
	s_waitcnt vmcnt(1)
	v_mul_f32_e32 v54, v24, v69
	s_waitcnt vmcnt(0)
	v_mul_f32_e32 v65, v15, v71
	v_fmac_f32_e32 v49, v45, v64
	v_lshlrev_b64 v[74:75], 3, v[74:75]
	v_mov_b32_e32 v93, v106
	v_fmac_f32_e32 v54, v36, v68
	v_mov_b32_e32 v28, v113
	v_fmac_f32_e32 v65, v27, v70
	v_lshlrev_b64 v[90:91], 3, v[90:91]
	v_add_co_u32 v74, vcc_lo, v0, v74
	v_mad_u64_u32 v[98:99], null, s3, v46, v[28:29]
	v_mul_f32_e32 v28, v39, v53
	v_mul_f32_e32 v46, v35, v57
	;; [unrolled: 1-line block ×6, first 2 shown]
	v_fma_f32 v23, v23, v52, -v28
	v_fma_f32 v21, v21, v56, -v46
	;; [unrolled: 1-line block ×3, first 2 shown]
	v_fmac_f32_e32 v53, v39, v52
	v_fmac_f32_e32 v57, v35, v56
	v_fmac_f32_e32 v51, v37, v50
	v_mul_f32_e32 v28, v30, v59
	v_mul_f32_e32 v35, v36, v69
	;; [unrolled: 1-line block ×12, first 2 shown]
	v_fma_f32 v16, v16, v58, -v28
	v_fma_f32 v28, v43, v64, -v33
	;; [unrolled: 1-line block ×6, first 2 shown]
	v_fmac_f32_e32 v50, v30, v58
	v_fmac_f32_e32 v52, v34, v66
	;; [unrolled: 1-line block ×4, first 2 shown]
	v_fma_f32 v15, v15, v70, -v61
	v_fma_f32 v17, v17, v72, -v63
	v_fmac_f32_e32 v67, v31, v72
	v_sub_f32_e32 v27, v16, v28
	v_sub_f32_e32 v30, v24, v20
	;; [unrolled: 1-line block ×3, first 2 shown]
	v_add_f32_e32 v32, v50, v49
	v_add_f32_e32 v33, v54, v52
	;; [unrolled: 1-line block ×6, first 2 shown]
	v_sub_f32_e32 v22, v50, v49
	v_sub_f32_e32 v24, v54, v52
	;; [unrolled: 1-line block ×5, first 2 shown]
	v_add_f32_e32 v37, v65, v53
	v_add_f32_e32 v38, v67, v51
	;; [unrolled: 1-line block ×4, first 2 shown]
	v_sub_f32_e32 v69, v21, v19
	v_add_f32_e32 v71, v57, v55
	v_add_f32_e32 v19, v21, v19
	v_sub_f32_e32 v21, v57, v55
	v_sub_f32_e32 v23, v65, v53
	;; [unrolled: 1-line block ×5, first 2 shown]
	v_add_f32_e32 v30, v30, v31
	v_sub_f32_e32 v45, v32, v33
	v_sub_f32_e32 v46, v33, v34
	v_add_f32_e32 v49, v32, v34
	v_sub_f32_e32 v50, v16, v20
	v_sub_f32_e32 v51, v20, v18
	v_add_f32_e32 v52, v16, v18
	v_sub_f32_e32 v53, v22, v24
	v_sub_f32_e32 v54, v24, v28
	v_add_f32_e32 v24, v24, v28
	v_sub_f32_e32 v31, v31, v27
	v_sub_f32_e32 v28, v28, v22
	v_add_f32_e32 v58, v37, v38
	v_add_f32_e32 v61, v15, v17
	v_add_co_ci_u32_e32 v75, vcc_lo, v1, v75, vcc_lo
	v_add_co_u32 v76, vcc_lo, v0, v76
	v_add_co_ci_u32_e32 v77, vcc_lo, v1, v77, vcc_lo
	v_sub_f32_e32 v32, v34, v32
	v_sub_f32_e32 v18, v18, v16
	;; [unrolled: 1-line block ×3, first 2 shown]
	v_add_f32_e32 v55, v69, v36
	v_sub_f32_e32 v56, v37, v71
	v_sub_f32_e32 v57, v71, v38
	;; [unrolled: 1-line block ×6, first 2 shown]
	v_add_f32_e32 v21, v21, v25
	v_sub_f32_e32 v36, v36, v35
	v_sub_f32_e32 v37, v38, v37
	;; [unrolled: 1-line block ×3, first 2 shown]
	v_mul_f32_e32 v17, 0xbf08b237, v43
	v_add_f32_e32 v27, v27, v30
	v_mul_f32_e32 v30, 0x3f4a47b2, v45
	v_mul_f32_e32 v43, 0x3d64c772, v46
	v_add_f32_e32 v33, v33, v49
	v_mul_f32_e32 v46, 0x3f4a47b2, v50
	;; [unrolled: 3-line block ×3, first 2 shown]
	v_add_f32_e32 v22, v22, v24
	v_mul_f32_e32 v24, 0x3f5ff5aa, v31
	v_mul_f32_e32 v52, 0x3f5ff5aa, v28
	v_add_f32_e32 v58, v71, v58
	v_add_f32_e32 v19, v19, v61
	v_add_co_u32 v78, vcc_lo, v0, v78
	v_sub_f32_e32 v25, v25, v23
	v_add_co_ci_u32_e32 v79, vcc_lo, v1, v79, vcc_lo
	v_add_co_u32 v80, vcc_lo, v0, v80
	v_sub_f32_e32 v34, v35, v69
	v_mul_f32_e32 v54, 0xbf08b237, v16
	v_mul_f32_e32 v57, 0x3d64c772, v57
	;; [unrolled: 1-line block ×4, first 2 shown]
	v_add_f32_e32 v21, v23, v21
	v_mul_f32_e32 v23, 0x3f5ff5aa, v36
	v_fmamk_f32 v65, v39, 0x3eae86e6, v17
	v_fmamk_f32 v45, v45, 0x3f4a47b2, v43
	v_add_f32_e32 v16, v44, v33
	v_add_f32_e32 v15, v42, v20
	v_fmamk_f32 v42, v53, 0x3eae86e6, v51
	v_fma_f32 v39, 0xbeae86e6, v39, -v24
	v_fma_f32 v24, 0xbf3bfb3b, v32, -v30
	;; [unrolled: 1-line block ×8, first 2 shown]
	v_add_f32_e32 v18, v26, v58
	v_add_f32_e32 v17, v14, v19
	v_add_co_ci_u32_e32 v81, vcc_lo, v1, v81, vcc_lo
	v_add_f32_e32 v35, v35, v55
	v_mul_f32_e32 v55, 0x3f4a47b2, v56
	v_mul_f32_e32 v64, 0x3f4a47b2, v59
	;; [unrolled: 1-line block ×3, first 2 shown]
	v_add_co_u32 v82, vcc_lo, v0, v82
	v_add_co_ci_u32_e32 v83, vcc_lo, v1, v83, vcc_lo
	v_add_co_u32 v84, vcc_lo, v0, v84
	v_fmamk_f32 v44, v50, 0x3f4a47b2, v49
	v_fmamk_f32 v49, v34, 0x3eae86e6, v54
	;; [unrolled: 1-line block ×5, first 2 shown]
	v_fma_f32 v34, 0xbeae86e6, v34, -v23
	v_fma_f32 v36, 0x3f5ff5aa, v36, -v54
	v_fmamk_f32 v33, v33, 0xbf955555, v16
	v_fmamk_f32 v20, v20, 0xbf955555, v15
	v_fmac_f32_e32 v42, 0x3ee1c552, v22
	v_fmac_f32_e32 v46, 0x3ee1c552, v22
	;; [unrolled: 1-line block ×3, first 2 shown]
	v_fmamk_f32 v22, v58, 0xbf955555, v18
	v_fmamk_f32 v19, v19, 0xbf955555, v17
	v_fma_f32 v23, 0xbf3bfb3b, v37, -v55
	v_fma_f32 v51, 0xbf3bfb3b, v38, -v64
	;; [unrolled: 1-line block ×3, first 2 shown]
	v_add_co_ci_u32_e32 v85, vcc_lo, v1, v85, vcc_lo
	v_fma_f32 v37, 0x3f3bfb3b, v37, -v57
	v_fma_f32 v53, 0x3f5ff5aa, v25, -v61
	;; [unrolled: 1-line block ×3, first 2 shown]
	v_add_co_u32 v86, vcc_lo, v0, v86
	v_mov_b32_e32 v95, v108
	v_add_co_ci_u32_e32 v87, vcc_lo, v1, v87, vcc_lo
	v_fmac_f32_e32 v65, 0x3ee1c552, v27
	v_fmac_f32_e32 v39, 0x3ee1c552, v27
	;; [unrolled: 1-line block ×7, first 2 shown]
	v_add_f32_e32 v27, v45, v33
	v_add_f32_e32 v35, v44, v20
	;; [unrolled: 1-line block ×7, first 2 shown]
	v_lshlrev_b64 v[92:93], 3, v[92:93]
	v_add_co_u32 v88, vcc_lo, v0, v88
	v_fmac_f32_e32 v52, 0x3ee1c552, v21
	v_add_f32_e32 v45, v23, v22
	v_add_f32_e32 v50, v51, v19
	v_mov_b32_e32 v97, v109
	v_fmac_f32_e32 v53, 0x3ee1c552, v21
	v_add_f32_e32 v37, v37, v22
	v_add_f32_e32 v51, v25, v19
	v_add_co_ci_u32_e32 v89, vcc_lo, v1, v89, vcc_lo
	v_lshlrev_b64 v[94:95], 3, v[94:95]
	v_add_co_u32 v90, vcc_lo, v0, v90
	global_store_dwordx2 v[74:75], v[17:18], off
	v_add_f32_e32 v30, v30, v20
	v_add_f32_e32 v18, v65, v27
	v_sub_f32_e32 v17, v35, v42
	v_sub_f32_e32 v22, v24, v31
	v_add_f32_e32 v21, v28, v32
	v_add_f32_e32 v24, v31, v24
	v_sub_f32_e32 v23, v32, v28
	v_sub_f32_e32 v28, v27, v65
	v_add_f32_e32 v27, v42, v35
	v_add_f32_e32 v31, v49, v43
	v_sub_f32_e32 v43, v43, v49
	v_add_f32_e32 v42, v14, v44
	v_add_co_ci_u32_e32 v91, vcc_lo, v1, v91, vcc_lo
	v_add_f32_e32 v20, v39, v38
	v_sub_f32_e32 v26, v38, v39
	v_sub_f32_e32 v39, v45, v34
	v_add_f32_e32 v38, v52, v50
	v_lshlrev_b64 v[96:97], 3, v[96:97]
	v_add_co_u32 v92, vcc_lo, v0, v92
	v_sub_f32_e32 v35, v37, v36
	v_add_f32_e32 v37, v36, v37
	v_sub_f32_e32 v36, v51, v53
	v_add_f32_e32 v33, v34, v45
	v_add_f32_e32 v34, v53, v51
	v_mov_b32_e32 v113, v98
	v_add_co_ci_u32_e32 v93, vcc_lo, v1, v93, vcc_lo
	v_sub_f32_e32 v32, v50, v52
	v_sub_f32_e32 v19, v30, v46
	v_add_f32_e32 v25, v46, v30
	v_sub_f32_e32 v30, v44, v14
	global_store_dwordx2 v[78:79], v[42:43], off
	global_store_dwordx2 v[80:81], v[38:39], off
	;; [unrolled: 1-line block ×8, first 2 shown]
	v_add_co_u32 v14, vcc_lo, v0, v94
	v_lshlrev_b64 v[27:28], 3, v[110:111]
	v_add_co_ci_u32_e32 v15, vcc_lo, v1, v95, vcc_lo
	v_add_co_u32 v30, vcc_lo, v0, v96
	v_lshlrev_b64 v[32:33], 3, v[112:113]
	v_add_co_ci_u32_e32 v31, vcc_lo, v1, v97, vcc_lo
	v_add_co_u32 v27, vcc_lo, v0, v27
	v_add_co_ci_u32_e32 v28, vcc_lo, v1, v28, vcc_lo
	v_add_co_u32 v32, vcc_lo, v0, v32
	v_add_co_ci_u32_e32 v33, vcc_lo, v1, v33, vcc_lo
	global_store_dwordx2 v[92:93], v[25:26], off
	global_store_dwordx2 v[14:15], v[23:24], off
	;; [unrolled: 1-line block ×5, first 2 shown]
	s_and_b32 exec_lo, exec_lo, s0
	s_cbranch_execz .LBB0_36
; %bb.35:
	v_subrev_nc_u32_e32 v14, 54, v47
	v_add_nc_u32_e32 v42, 0x7e, v47
	v_add_nc_u32_e32 v44, 0x132, v47
	;; [unrolled: 1-line block ×4, first 2 shown]
	v_cndmask_b32_e64 v14, v14, v48, s0
	v_mad_u64_u32 v[26:27], null, s2, v42, 0
	v_mad_u64_u32 v[30:31], null, s2, v45, 0
	v_mul_i32_i24_e32 v28, 6, v14
	v_add_nc_u32_e32 v48, 0x34e, v47
	v_mad_u64_u32 v[32:33], null, s2, v46, 0
	v_add_nc_u32_e32 v49, 0x402, v47
	v_lshlrev_b64 v[14:15], 3, v[28:29]
	v_mad_u64_u32 v[28:29], null, s2, v44, 0
	v_mad_u64_u32 v[34:35], null, s2, v48, 0
	v_add_nc_u32_e32 v50, 0x4b6, v47
	v_add_co_u32 v22, vcc_lo, s8, v14
	v_add_co_ci_u32_e32 v23, vcc_lo, s9, v15, vcc_lo
	v_mad_u64_u32 v[42:43], null, s3, v42, v[27:28]
	v_mad_u64_u32 v[43:44], null, s3, v44, v[29:30]
	s_clause 0x2
	global_load_dwordx4 v[14:17], v[22:23], off offset:1424
	global_load_dwordx4 v[18:21], v[22:23], off offset:1440
	;; [unrolled: 1-line block ×3, first 2 shown]
	v_mad_u64_u32 v[36:37], null, s2, v49, 0
	v_mad_u64_u32 v[44:45], null, s3, v45, v[31:32]
	;; [unrolled: 1-line block ×3, first 2 shown]
	v_mov_b32_e32 v27, v42
	v_mad_u64_u32 v[45:46], null, s3, v46, v[33:34]
	v_mov_b32_e32 v29, v43
	v_mad_u64_u32 v[46:47], null, s3, v48, v[35:36]
	v_lshlrev_b64 v[26:27], 3, v[26:27]
	v_mov_b32_e32 v31, v44
	v_mad_u64_u32 v[47:48], null, s3, v49, v[37:38]
	v_lshlrev_b64 v[28:29], 3, v[28:29]
	;; [unrolled: 3-line block ×3, first 2 shown]
	v_add_co_u32 v26, vcc_lo, v0, v26
	v_mov_b32_e32 v35, v46
	v_add_co_ci_u32_e32 v27, vcc_lo, v1, v27, vcc_lo
	v_lshlrev_b64 v[32:33], 3, v[32:33]
	v_add_co_u32 v28, vcc_lo, v0, v28
	v_mov_b32_e32 v37, v47
	v_add_co_ci_u32_e32 v29, vcc_lo, v1, v29, vcc_lo
	v_lshlrev_b64 v[34:35], 3, v[34:35]
	;; [unrolled: 4-line block ×3, first 2 shown]
	v_add_co_u32 v32, vcc_lo, v0, v32
	v_add_co_ci_u32_e32 v33, vcc_lo, v1, v33, vcc_lo
	v_lshlrev_b64 v[38:39], 3, v[38:39]
	v_add_co_u32 v34, vcc_lo, v0, v34
	v_add_co_ci_u32_e32 v35, vcc_lo, v1, v35, vcc_lo
	v_add_co_u32 v36, vcc_lo, v0, v36
	v_add_co_ci_u32_e32 v37, vcc_lo, v1, v37, vcc_lo
	;; [unrolled: 2-line block ×3, first 2 shown]
	s_waitcnt vmcnt(2)
	v_mul_f32_e32 v38, v12, v15
	v_mul_f32_e32 v15, v10, v15
	;; [unrolled: 1-line block ×4, first 2 shown]
	s_waitcnt vmcnt(0)
	v_mul_f32_e32 v44, v6, v23
	v_mul_f32_e32 v23, v2, v23
	;; [unrolled: 1-line block ×8, first 2 shown]
	v_fma_f32 v10, v10, v14, -v38
	v_fmac_f32_e32 v15, v12, v14
	v_fma_f32 v11, v11, v16, -v39
	v_fmac_f32_e32 v17, v13, v16
	;; [unrolled: 2-line block ×6, first 2 shown]
	v_add_f32_e32 v6, v10, v3
	v_add_f32_e32 v7, v15, v25
	v_sub_f32_e32 v3, v10, v3
	v_add_f32_e32 v9, v11, v2
	v_add_f32_e32 v10, v17, v23
	v_sub_f32_e32 v8, v15, v25
	v_sub_f32_e32 v2, v11, v2
	;; [unrolled: 1-line block ×3, first 2 shown]
	v_add_f32_e32 v12, v4, v5
	v_add_f32_e32 v13, v19, v21
	v_sub_f32_e32 v4, v5, v4
	v_sub_f32_e32 v5, v21, v19
	v_add_f32_e32 v14, v9, v6
	v_add_f32_e32 v15, v10, v7
	v_sub_f32_e32 v16, v9, v6
	v_sub_f32_e32 v17, v10, v7
	;; [unrolled: 1-line block ×6, first 2 shown]
	v_add_f32_e32 v18, v4, v2
	v_add_f32_e32 v19, v5, v11
	v_sub_f32_e32 v20, v4, v2
	v_sub_f32_e32 v21, v5, v11
	;; [unrolled: 1-line block ×4, first 2 shown]
	v_add_f32_e32 v12, v12, v14
	v_add_f32_e32 v13, v13, v15
	v_sub_f32_e32 v4, v3, v4
	v_sub_f32_e32 v5, v8, v5
	v_add_f32_e32 v14, v18, v3
	v_add_f32_e32 v8, v19, v8
	v_mul_f32_e32 v6, 0x3f4a47b2, v6
	v_mul_f32_e32 v7, 0x3f4a47b2, v7
	;; [unrolled: 1-line block ×8, first 2 shown]
	v_add_f32_e32 v2, v40, v12
	v_add_f32_e32 v3, v41, v13
	v_fmamk_f32 v9, v9, 0x3d64c772, v6
	v_fmamk_f32 v10, v10, 0x3d64c772, v7
	v_fma_f32 v15, 0x3f3bfb3b, v16, -v15
	v_fma_f32 v18, 0x3f3bfb3b, v17, -v18
	;; [unrolled: 1-line block ×4, first 2 shown]
	v_fmamk_f32 v16, v4, 0x3eae86e6, v19
	v_fmamk_f32 v17, v5, 0x3eae86e6, v20
	v_fma_f32 v11, 0x3f5ff5aa, v11, -v20
	v_fma_f32 v20, 0xbeae86e6, v4, -v21
	;; [unrolled: 1-line block ×3, first 2 shown]
	v_fmamk_f32 v4, v12, 0xbf955555, v2
	v_fmamk_f32 v5, v13, 0xbf955555, v3
	v_fma_f32 v19, 0x3f5ff5aa, v22, -v19
	v_fmac_f32_e32 v16, 0x3ee1c552, v14
	v_fmac_f32_e32 v17, 0x3ee1c552, v8
	v_add_f32_e32 v12, v9, v4
	v_add_f32_e32 v13, v10, v5
	v_fmac_f32_e32 v19, 0x3ee1c552, v14
	v_fmac_f32_e32 v20, 0x3ee1c552, v14
	;; [unrolled: 1-line block ×3, first 2 shown]
	v_add_f32_e32 v10, v6, v4
	v_add_f32_e32 v14, v7, v5
	v_fmac_f32_e32 v11, 0x3ee1c552, v8
	v_add_f32_e32 v8, v15, v4
	v_add_f32_e32 v9, v18, v5
	global_store_dwordx2 v[26:27], v[2:3], off
	v_add_f32_e32 v2, v17, v12
	v_sub_f32_e32 v3, v13, v16
	v_add_f32_e32 v4, v21, v10
	v_sub_f32_e32 v5, v14, v20
	v_sub_f32_e32 v6, v8, v11
	v_add_f32_e32 v7, v19, v9
	v_add_f32_e32 v8, v11, v8
	v_sub_f32_e32 v9, v9, v19
	v_sub_f32_e32 v10, v10, v21
	v_add_f32_e32 v11, v20, v14
	v_sub_f32_e32 v12, v12, v17
	v_add_f32_e32 v13, v16, v13
	global_store_dwordx2 v[28:29], v[2:3], off
	global_store_dwordx2 v[30:31], v[4:5], off
	;; [unrolled: 1-line block ×6, first 2 shown]
.LBB0_36:
	s_endpgm
	.section	.rodata,"a",@progbits
	.p2align	6, 0x0
	.amdhsa_kernel fft_rtc_fwd_len1260_factors_2_2_3_3_5_7_wgs_63_tpt_63_halfLds_sp_ip_CI_sbrr_dirReg
		.amdhsa_group_segment_fixed_size 0
		.amdhsa_private_segment_fixed_size 0
		.amdhsa_kernarg_size 88
		.amdhsa_user_sgpr_count 6
		.amdhsa_user_sgpr_private_segment_buffer 1
		.amdhsa_user_sgpr_dispatch_ptr 0
		.amdhsa_user_sgpr_queue_ptr 0
		.amdhsa_user_sgpr_kernarg_segment_ptr 1
		.amdhsa_user_sgpr_dispatch_id 0
		.amdhsa_user_sgpr_flat_scratch_init 0
		.amdhsa_user_sgpr_private_segment_size 0
		.amdhsa_wavefront_size32 1
		.amdhsa_uses_dynamic_stack 0
		.amdhsa_system_sgpr_private_segment_wavefront_offset 0
		.amdhsa_system_sgpr_workgroup_id_x 1
		.amdhsa_system_sgpr_workgroup_id_y 0
		.amdhsa_system_sgpr_workgroup_id_z 0
		.amdhsa_system_sgpr_workgroup_info 0
		.amdhsa_system_vgpr_workitem_id 0
		.amdhsa_next_free_vgpr 116
		.amdhsa_next_free_sgpr 23
		.amdhsa_reserve_vcc 1
		.amdhsa_reserve_flat_scratch 0
		.amdhsa_float_round_mode_32 0
		.amdhsa_float_round_mode_16_64 0
		.amdhsa_float_denorm_mode_32 3
		.amdhsa_float_denorm_mode_16_64 3
		.amdhsa_dx10_clamp 1
		.amdhsa_ieee_mode 1
		.amdhsa_fp16_overflow 0
		.amdhsa_workgroup_processor_mode 1
		.amdhsa_memory_ordered 1
		.amdhsa_forward_progress 0
		.amdhsa_shared_vgpr_count 0
		.amdhsa_exception_fp_ieee_invalid_op 0
		.amdhsa_exception_fp_denorm_src 0
		.amdhsa_exception_fp_ieee_div_zero 0
		.amdhsa_exception_fp_ieee_overflow 0
		.amdhsa_exception_fp_ieee_underflow 0
		.amdhsa_exception_fp_ieee_inexact 0
		.amdhsa_exception_int_div_zero 0
	.end_amdhsa_kernel
	.text
.Lfunc_end0:
	.size	fft_rtc_fwd_len1260_factors_2_2_3_3_5_7_wgs_63_tpt_63_halfLds_sp_ip_CI_sbrr_dirReg, .Lfunc_end0-fft_rtc_fwd_len1260_factors_2_2_3_3_5_7_wgs_63_tpt_63_halfLds_sp_ip_CI_sbrr_dirReg
                                        ; -- End function
	.section	.AMDGPU.csdata,"",@progbits
; Kernel info:
; codeLenInByte = 14332
; NumSgprs: 25
; NumVgprs: 116
; ScratchSize: 0
; MemoryBound: 0
; FloatMode: 240
; IeeeMode: 1
; LDSByteSize: 0 bytes/workgroup (compile time only)
; SGPRBlocks: 3
; VGPRBlocks: 14
; NumSGPRsForWavesPerEU: 25
; NumVGPRsForWavesPerEU: 116
; Occupancy: 8
; WaveLimiterHint : 1
; COMPUTE_PGM_RSRC2:SCRATCH_EN: 0
; COMPUTE_PGM_RSRC2:USER_SGPR: 6
; COMPUTE_PGM_RSRC2:TRAP_HANDLER: 0
; COMPUTE_PGM_RSRC2:TGID_X_EN: 1
; COMPUTE_PGM_RSRC2:TGID_Y_EN: 0
; COMPUTE_PGM_RSRC2:TGID_Z_EN: 0
; COMPUTE_PGM_RSRC2:TIDIG_COMP_CNT: 0
	.text
	.p2alignl 6, 3214868480
	.fill 48, 4, 3214868480
	.type	__hip_cuid_dead2b350a9675ce,@object ; @__hip_cuid_dead2b350a9675ce
	.section	.bss,"aw",@nobits
	.globl	__hip_cuid_dead2b350a9675ce
__hip_cuid_dead2b350a9675ce:
	.byte	0                               ; 0x0
	.size	__hip_cuid_dead2b350a9675ce, 1

	.ident	"AMD clang version 19.0.0git (https://github.com/RadeonOpenCompute/llvm-project roc-6.4.0 25133 c7fe45cf4b819c5991fe208aaa96edf142730f1d)"
	.section	".note.GNU-stack","",@progbits
	.addrsig
	.addrsig_sym __hip_cuid_dead2b350a9675ce
	.amdgpu_metadata
---
amdhsa.kernels:
  - .args:
      - .actual_access:  read_only
        .address_space:  global
        .offset:         0
        .size:           8
        .value_kind:     global_buffer
      - .offset:         8
        .size:           8
        .value_kind:     by_value
      - .actual_access:  read_only
        .address_space:  global
        .offset:         16
        .size:           8
        .value_kind:     global_buffer
      - .actual_access:  read_only
        .address_space:  global
        .offset:         24
        .size:           8
        .value_kind:     global_buffer
      - .offset:         32
        .size:           8
        .value_kind:     by_value
      - .actual_access:  read_only
        .address_space:  global
        .offset:         40
        .size:           8
        .value_kind:     global_buffer
      - .actual_access:  read_only
        .address_space:  global
        .offset:         48
        .size:           8
        .value_kind:     global_buffer
      - .offset:         56
        .size:           4
        .value_kind:     by_value
      - .actual_access:  read_only
        .address_space:  global
        .offset:         64
        .size:           8
        .value_kind:     global_buffer
      - .actual_access:  read_only
        .address_space:  global
        .offset:         72
        .size:           8
        .value_kind:     global_buffer
      - .address_space:  global
        .offset:         80
        .size:           8
        .value_kind:     global_buffer
    .group_segment_fixed_size: 0
    .kernarg_segment_align: 8
    .kernarg_segment_size: 88
    .language:       OpenCL C
    .language_version:
      - 2
      - 0
    .max_flat_workgroup_size: 63
    .name:           fft_rtc_fwd_len1260_factors_2_2_3_3_5_7_wgs_63_tpt_63_halfLds_sp_ip_CI_sbrr_dirReg
    .private_segment_fixed_size: 0
    .sgpr_count:     25
    .sgpr_spill_count: 0
    .symbol:         fft_rtc_fwd_len1260_factors_2_2_3_3_5_7_wgs_63_tpt_63_halfLds_sp_ip_CI_sbrr_dirReg.kd
    .uniform_work_group_size: 1
    .uses_dynamic_stack: false
    .vgpr_count:     116
    .vgpr_spill_count: 0
    .wavefront_size: 32
    .workgroup_processor_mode: 1
amdhsa.target:   amdgcn-amd-amdhsa--gfx1030
amdhsa.version:
  - 1
  - 2
...

	.end_amdgpu_metadata
